;; amdgpu-corpus repo=ROCm/rocFFT kind=compiled arch=gfx1030 opt=O3
	.text
	.amdgcn_target "amdgcn-amd-amdhsa--gfx1030"
	.amdhsa_code_object_version 6
	.protected	bluestein_single_fwd_len2016_dim1_dp_op_CI_CI ; -- Begin function bluestein_single_fwd_len2016_dim1_dp_op_CI_CI
	.globl	bluestein_single_fwd_len2016_dim1_dp_op_CI_CI
	.p2align	8
	.type	bluestein_single_fwd_len2016_dim1_dp_op_CI_CI,@function
bluestein_single_fwd_len2016_dim1_dp_op_CI_CI: ; @bluestein_single_fwd_len2016_dim1_dp_op_CI_CI
; %bb.0:
	s_load_dwordx4 s[16:19], s[4:5], 0x28
	v_mul_u32_u24_e32 v1, 0x24a, v0
	s_mov_b64 s[30:31], s[2:3]
	s_mov_b64 s[28:29], s[0:1]
	v_mov_b32_e32 v7, 0
	s_add_u32 s28, s28, s7
	v_lshrrev_b32_e32 v25, 16, v1
	s_addc_u32 s29, s29, 0
	s_mov_b32 s0, exec_lo
	v_lshl_add_u32 v6, s6, 1, v25
	s_waitcnt lgkmcnt(0)
	v_cmpx_gt_u64_e64 s[16:17], v[6:7]
	s_cbranch_execz .LBB0_10
; %bb.1:
	s_clause 0x1
	s_load_dwordx4 s[0:3], s[4:5], 0x18
	s_load_dwordx4 s[12:15], s[4:5], 0x0
	v_mul_lo_u16 v1, 0x70, v25
	v_mov_b32_e32 v7, v6
	v_and_b32_e32 v25, 1, v25
	v_sub_nc_u16 v24, v0, v1
	v_and_b32_e32 v112, 0xffff, v24
	v_or_b32_e32 v14, 0x700, v112
	v_or_b32_e32 v89, 0x380, v112
	v_lshlrev_b32_e32 v26, 4, v112
	s_waitcnt lgkmcnt(0)
	s_load_dwordx4 s[8:11], s[0:1], 0x0
	buffer_store_dword v7, off, s[28:31], 0 ; 4-byte Folded Spill
	buffer_store_dword v8, off, s[28:31], 0 offset:4 ; 4-byte Folded Spill
	buffer_store_dword v14, off, s[28:31], 0 offset:8 ; 4-byte Folded Spill
	global_load_dwordx4 v[73:76], v26, s[12:13]
	v_add_co_u32 v27, s0, s12, v26
	v_add_co_ci_u32_e64 v28, null, s13, 0, s0
	s_waitcnt lgkmcnt(0)
	v_mad_u64_u32 v[0:1], null, s10, v6, 0
	v_mad_u64_u32 v[2:3], null, s8, v112, 0
	;; [unrolled: 1-line block ×3, first 2 shown]
	s_mul_i32 s0, s9, 0x3f00
	s_mul_hi_u32 s6, s8, 0x3f00
	s_mul_i32 s1, s8, 0x3f00
	s_add_i32 s0, s6, s0
	v_mad_u64_u32 v[6:7], null, s11, v6, v[1:2]
	v_mad_u64_u32 v[7:8], null, s8, v89, 0
	;; [unrolled: 1-line block ×3, first 2 shown]
	s_mul_hi_u32 s6, s8, 0xffffc800
	s_mul_i32 s10, s9, 0xffffc800
	v_mov_b32_e32 v1, v6
	s_sub_i32 s6, s6, s8
	v_mov_b32_e32 v6, v8
	s_mul_i32 s7, s8, 0xffffc800
	v_mov_b32_e32 v3, v9
	v_lshlrev_b64 v[0:1], 4, v[0:1]
	s_add_i32 s6, s6, s10
	v_mad_u64_u32 v[8:9], null, s9, v14, v[5:6]
	v_mad_u64_u32 v[9:10], null, s9, v89, v[6:7]
	v_lshlrev_b64 v[2:3], 4, v[2:3]
	v_add_co_u32 v10, vcc_lo, s18, v0
	v_add_co_ci_u32_e32 v11, vcc_lo, s19, v1, vcc_lo
	v_mov_b32_e32 v5, v8
	v_add_co_u32 v12, vcc_lo, v10, v2
	v_add_co_ci_u32_e32 v13, vcc_lo, v11, v3, vcc_lo
	v_mov_b32_e32 v8, v9
	v_lshlrev_b64 v[4:5], 4, v[4:5]
	v_lshlrev_b32_e32 v6, 4, v14
	global_load_dwordx4 v[0:3], v[12:13], off
	v_lshlrev_b32_e32 v14, 4, v89
	v_lshlrev_b64 v[8:9], 4, v[7:8]
	v_add_co_u32 v4, vcc_lo, v10, v4
	v_add_co_ci_u32_e32 v5, vcc_lo, v11, v5, vcc_lo
	v_add_co_u32 v8, vcc_lo, v10, v8
	v_add_co_ci_u32_e32 v9, vcc_lo, v11, v9, vcc_lo
	s_clause 0x1
	global_load_dwordx4 v[65:68], v6, s[12:13]
	global_load_dwordx4 v[69:72], v14, s[12:13]
	buffer_store_dword v14, off, s[28:31], 0 offset:372 ; 4-byte Folded Spill
	v_add_co_u32 v14, vcc_lo, 0x3800, v27
	v_add_co_ci_u32_e32 v15, vcc_lo, 0, v28, vcc_lo
	v_add_co_u32 v16, vcc_lo, v12, s1
	v_add_co_ci_u32_e32 v17, vcc_lo, s0, v13, vcc_lo
	buffer_store_dword v6, off, s[28:31], 0 offset:376 ; 4-byte Folded Spill
	v_add_co_u32 v20, vcc_lo, v16, s7
	v_add_co_ci_u32_e32 v21, vcc_lo, s6, v17, vcc_lo
	v_add_co_u32 v22, vcc_lo, 0x4000, v27
	v_add_co_ci_u32_e32 v23, vcc_lo, 0, v28, vcc_lo
	;; [unrolled: 2-line block ×9, first 2 shown]
	s_clause 0x1
	global_load_dwordx4 v[4:7], v[4:5], off
	global_load_dwordx4 v[8:11], v[8:9], off
	v_add_co_u32 v43, vcc_lo, 0x5000, v27
	v_add_co_ci_u32_e32 v44, vcc_lo, 0, v28, vcc_lo
	v_add_co_u32 v45, vcc_lo, v41, s1
	v_add_co_ci_u32_e32 v46, vcc_lo, s0, v42, vcc_lo
	;; [unrolled: 2-line block ×7, first 2 shown]
	s_clause 0x1
	global_load_dwordx4 v[77:80], v26, s[12:13] offset:1792
	global_load_dwordx4 v[81:84], v[14:15], off offset:1792
	s_clause 0x1
	global_load_dwordx4 v[12:15], v[16:17], off
	global_load_dwordx4 v[16:19], v[20:21], off
	global_load_dwordx4 v[85:88], v[22:23], off offset:1536
	global_load_dwordx4 v[20:23], v[29:30], off
	global_load_dwordx4 v[94:97], v[31:32], off offset:1536
	;; [unrolled: 2-line block ×8, first 2 shown]
	s_waitcnt vmcnt(23)
	v_mul_f64 v[55:56], v[2:3], v[75:76]
	v_mul_f64 v[57:58], v[0:1], v[75:76]
	v_fma_f64 v[0:1], v[0:1], v[73:74], v[55:56]
	buffer_store_dword v73, off, s[28:31], 0 offset:48 ; 4-byte Folded Spill
	buffer_store_dword v74, off, s[28:31], 0 offset:52 ; 4-byte Folded Spill
	;; [unrolled: 1-line block ×4, first 2 shown]
	s_waitcnt vmcnt(20)
	v_mul_f64 v[59:60], v[6:7], v[67:68]
	s_waitcnt vmcnt(19)
	v_mul_f64 v[55:56], v[10:11], v[71:72]
	v_mul_f64 v[61:62], v[4:5], v[67:68]
	v_fma_f64 v[4:5], v[4:5], v[65:66], v[59:60]
	buffer_store_dword v65, off, s[28:31], 0 offset:16 ; 4-byte Folded Spill
	buffer_store_dword v66, off, s[28:31], 0 offset:20 ; 4-byte Folded Spill
	buffer_store_dword v67, off, s[28:31], 0 offset:24 ; 4-byte Folded Spill
	buffer_store_dword v68, off, s[28:31], 0 offset:28 ; 4-byte Folded Spill
	s_waitcnt vmcnt(16)
	v_mul_f64 v[59:60], v[14:15], v[83:84]
	v_fma_f64 v[2:3], v[2:3], v[73:74], -v[57:58]
	v_mul_f64 v[57:58], v[8:9], v[71:72]
	v_fma_f64 v[8:9], v[8:9], v[69:70], v[55:56]
	buffer_store_dword v69, off, s[28:31], 0 offset:32 ; 4-byte Folded Spill
	buffer_store_dword v70, off, s[28:31], 0 offset:36 ; 4-byte Folded Spill
	buffer_store_dword v71, off, s[28:31], 0 offset:40 ; 4-byte Folded Spill
	buffer_store_dword v72, off, s[28:31], 0 offset:44 ; 4-byte Folded Spill
	s_waitcnt vmcnt(15)
	v_mul_f64 v[55:56], v[18:19], v[79:80]
	v_fma_f64 v[6:7], v[6:7], v[65:66], -v[61:62]
	;; [unrolled: 9-line block ×9, first 2 shown]
	v_mul_f64 v[57:58], v[45:46], v[108:109]
	v_fma_f64 v[45:46], v[45:46], v[106:107], v[55:56]
	buffer_store_dword v106, off, s[28:31], 0 offset:176 ; 4-byte Folded Spill
	buffer_store_dword v107, off, s[28:31], 0 offset:180 ; 4-byte Folded Spill
	;; [unrolled: 1-line block ×4, first 2 shown]
	v_add_co_u32 v55, vcc_lo, 0x2000, v27
	v_add_co_ci_u32_e32 v56, vcc_lo, 0, v28, vcc_lo
	global_load_dwordx4 v[63:66], v[55:56], off offset:768
	v_fma_f64 v[43:44], v[43:44], v[98:99], -v[61:62]
	v_mul_f64 v[61:62], v[49:50], v[119:120]
	v_fma_f64 v[49:50], v[49:50], v[117:118], v[59:60]
	buffer_store_dword v117, off, s[28:31], 0 offset:208 ; 4-byte Folded Spill
	buffer_store_dword v118, off, s[28:31], 0 offset:212 ; 4-byte Folded Spill
	;; [unrolled: 1-line block ×4, first 2 shown]
	v_fma_f64 v[47:48], v[47:48], v[106:107], -v[57:58]
	v_add_co_u32 v57, vcc_lo, v53, s7
	v_add_co_ci_u32_e32 v58, vcc_lo, s6, v54, vcc_lo
	global_load_dwordx4 v[53:56], v[57:58], off
	v_fma_f64 v[51:52], v[51:52], v[117:118], -v[61:62]
	s_waitcnt vmcnt(0)
	v_mul_f64 v[59:60], v[55:56], v[65:66]
	v_mul_f64 v[61:62], v[53:54], v[65:66]
	v_fma_f64 v[53:54], v[53:54], v[63:64], v[59:60]
	buffer_store_dword v63, off, s[28:31], 0 offset:256 ; 4-byte Folded Spill
	buffer_store_dword v64, off, s[28:31], 0 offset:260 ; 4-byte Folded Spill
	buffer_store_dword v65, off, s[28:31], 0 offset:264 ; 4-byte Folded Spill
	buffer_store_dword v66, off, s[28:31], 0 offset:268 ; 4-byte Folded Spill
	v_fma_f64 v[55:56], v[55:56], v[63:64], -v[61:62]
	v_add_co_u32 v61, vcc_lo, v57, s1
	v_add_co_ci_u32_e32 v62, vcc_lo, s0, v58, vcc_lo
	v_add_co_u32 v57, vcc_lo, 0x6000, v27
	v_add_co_ci_u32_e32 v58, vcc_lo, 0, v28, vcc_lo
	global_load_dwordx4 v[67:70], v[57:58], off offset:512
	global_load_dwordx4 v[57:60], v[61:62], off
	s_waitcnt vmcnt(0)
	v_mul_f64 v[63:64], v[59:60], v[69:70]
	v_mul_f64 v[65:66], v[57:58], v[69:70]
	v_fma_f64 v[57:58], v[57:58], v[67:68], v[63:64]
	buffer_store_dword v67, off, s[28:31], 0 offset:272 ; 4-byte Folded Spill
	buffer_store_dword v68, off, s[28:31], 0 offset:276 ; 4-byte Folded Spill
	buffer_store_dword v69, off, s[28:31], 0 offset:280 ; 4-byte Folded Spill
	buffer_store_dword v70, off, s[28:31], 0 offset:284 ; 4-byte Folded Spill
	v_fma_f64 v[59:60], v[59:60], v[67:68], -v[65:66]
	v_add_co_u32 v65, vcc_lo, v61, s7
	v_add_co_ci_u32_e32 v66, vcc_lo, s6, v62, vcc_lo
	v_add_co_u32 v61, vcc_lo, 0x2800, v27
	v_add_co_ci_u32_e32 v62, vcc_lo, 0, v28, vcc_lo
	global_load_dwordx4 v[71:74], v[61:62], off offset:512
	global_load_dwordx4 v[61:64], v[65:66], off
	;; [unrolled: 15-line block ×3, first 2 shown]
	s_mov_b32 s0, 0xe8584caa
	s_mov_b32 s1, 0x3febb67a
	s_waitcnt vmcnt(0)
	v_mul_f64 v[71:72], v[67:68], v[77:78]
	v_mul_f64 v[73:74], v[65:66], v[77:78]
	v_fma_f64 v[65:66], v[65:66], v[75:76], v[71:72]
	buffer_store_dword v75, off, s[28:31], 0 offset:240 ; 4-byte Folded Spill
	buffer_store_dword v76, off, s[28:31], 0 offset:244 ; 4-byte Folded Spill
	;; [unrolled: 1-line block ×4, first 2 shown]
	v_fma_f64 v[67:68], v[67:68], v[75:76], -v[73:74]
	v_add_co_u32 v73, vcc_lo, v69, s7
	v_add_co_ci_u32_e32 v74, vcc_lo, s6, v70, vcc_lo
	v_add_co_u32 v27, vcc_lo, 0x3000, v27
	v_add_co_ci_u32_e32 v28, vcc_lo, 0, v28, vcc_lo
	global_load_dwordx4 v[77:80], v[27:28], off offset:256
	global_load_dwordx4 v[69:72], v[73:74], off
	v_cmp_eq_u32_e32 vcc_lo, 1, v25
	v_cndmask_b32_e64 v25, 0, 0x7e0, vcc_lo
	v_cmp_gt_u16_e32 vcc_lo, 0x60, v24
	s_waitcnt vmcnt(0)
	v_mul_f64 v[27:28], v[71:72], v[79:80]
	v_mul_f64 v[75:76], v[69:70], v[79:80]
	v_fma_f64 v[69:70], v[69:70], v[77:78], v[27:28]
	buffer_store_dword v77, off, s[28:31], 0 offset:224 ; 4-byte Folded Spill
	buffer_store_dword v78, off, s[28:31], 0 offset:228 ; 4-byte Folded Spill
	;; [unrolled: 1-line block ×4, first 2 shown]
	v_mad_u64_u32 v[27:28], null, 0x4600, s8, v[73:74]
	v_mad_u64_u32 v[73:74], null, 0x4600, s9, v[28:29]
	v_mov_b32_e32 v28, v73
	v_fma_f64 v[71:72], v[71:72], v[77:78], -v[75:76]
	global_load_dwordx4 v[73:76], v[27:28], off
	s_waitcnt vmcnt(0)
	v_mul_f64 v[27:28], v[75:76], v[92:93]
	v_mul_f64 v[77:78], v[73:74], v[92:93]
	v_fma_f64 v[73:74], v[73:74], v[90:91], v[27:28]
	buffer_store_dword v90, off, s[28:31], 0 offset:112 ; 4-byte Folded Spill
	buffer_store_dword v91, off, s[28:31], 0 offset:116 ; 4-byte Folded Spill
	;; [unrolled: 1-line block ×4, first 2 shown]
	v_lshlrev_b32_e32 v93, 4, v25
	v_add_nc_u32_e32 v92, v93, v26
	ds_write_b128 v92, v[0:3]
	ds_write_b128 v92, v[4:7] offset:28672
	ds_write_b128 v92, v[8:11] offset:14336
	ds_write_b128 v92, v[12:15] offset:16128
	ds_write_b128 v92, v[16:19] offset:1792
	ds_write_b128 v92, v[20:23] offset:17920
	ds_write_b128 v92, v[29:32] offset:3584
	ds_write_b128 v92, v[33:36] offset:19712
	s_load_dwordx4 s[8:11], s[2:3], 0x0
	s_mov_b32 s3, 0xbfebb67a
	s_mov_b32 s2, s0
	v_fma_f64 v[75:76], v[75:76], v[90:91], -v[77:78]
	ds_write_b128 v92, v[37:40] offset:5376
	ds_write_b128 v92, v[41:44] offset:21504
	ds_write_b128 v92, v[45:48] offset:7168
	ds_write_b128 v92, v[49:52] offset:23296
	ds_write_b128 v92, v[53:56] offset:8960
	ds_write_b128 v92, v[57:60] offset:25088
	ds_write_b128 v92, v[61:64] offset:10752
	ds_write_b128 v92, v[65:68] offset:26880
	ds_write_b128 v92, v[69:72] offset:12544
	ds_write_b128 v92, v[73:76] offset:30464
	s_waitcnt lgkmcnt(0)
	s_waitcnt_vscnt null, 0x0
	s_barrier
	buffer_gl0_inv
	ds_read_b128 v[0:3], v92 offset:16128
	ds_read_b128 v[4:7], v92
	ds_read_b128 v[8:11], v92 offset:1792
	ds_read_b128 v[12:15], v92 offset:17920
	;; [unrolled: 1-line block ×14, first 2 shown]
	s_waitcnt lgkmcnt(14)
	v_add_f64 v[0:1], v[4:5], -v[0:1]
	v_add_f64 v[2:3], v[6:7], -v[2:3]
	s_waitcnt lgkmcnt(12)
	v_add_f64 v[12:13], v[8:9], -v[12:13]
	v_add_f64 v[14:15], v[10:11], -v[14:15]
	;; [unrolled: 3-line block ×6, first 2 shown]
	ds_read_b128 v[53:56], v92 offset:28672
	ds_read_b128 v[69:72], v92 offset:30464
	v_add_f64 v[49:50], v[45:46], -v[49:50]
	v_add_f64 v[51:52], v[47:48], -v[51:52]
	s_waitcnt lgkmcnt(0)
	s_barrier
	buffer_gl0_inv
	v_fma_f64 v[4:5], v[4:5], 2.0, -v[0:1]
	v_fma_f64 v[6:7], v[6:7], 2.0, -v[2:3]
	;; [unrolled: 1-line block ×8, first 2 shown]
	v_lshl_add_u32 v25, v112, 5, v93
	v_add_f64 v[73:74], v[61:62], -v[53:54]
	v_add_f64 v[75:76], v[63:64], -v[55:56]
	;; [unrolled: 1-line block ×4, first 2 shown]
	v_add_co_u32 v28, null, 0x70, v112
	v_fma_f64 v[41:42], v[41:42], 2.0, -v[37:38]
	v_fma_f64 v[43:44], v[43:44], 2.0, -v[39:40]
	ds_write_b128 v25, v[0:3] offset:16
	v_lshl_add_u32 v0, v28, 5, v93
	v_add_co_u32 v56, null, 0xe0, v112
	v_fma_f64 v[45:46], v[45:46], 2.0, -v[49:50]
	v_fma_f64 v[47:48], v[47:48], 2.0, -v[51:52]
	ds_write_b128 v25, v[4:7]
	buffer_store_dword v0, off, s[28:31], 0 offset:428 ; 4-byte Folded Spill
	ds_write_b128 v0, v[8:11]
	ds_write_b128 v0, v[12:15] offset:16
	v_lshl_add_u32 v0, v56, 5, v93
	v_add_co_u32 v27, null, 0x150, v112
	v_fma_f64 v[57:58], v[57:58], 2.0, -v[65:66]
	v_fma_f64 v[59:60], v[59:60], 2.0, -v[67:68]
	v_fma_f64 v[61:62], v[61:62], 2.0, -v[73:74]
	v_fma_f64 v[63:64], v[63:64], 2.0, -v[75:76]
	v_fma_f64 v[33:34], v[33:34], 2.0, -v[69:70]
	v_fma_f64 v[35:36], v[35:36], 2.0, -v[71:72]
	ds_write_b128 v0, v[20:23]
	buffer_store_dword v0, off, s[28:31], 0 offset:416 ; 4-byte Folded Spill
	ds_write_b128 v0, v[16:19] offset:16
	v_lshl_add_u32 v0, v27, 5, v93
	v_add_co_u32 v26, null, 0x1c0, v112
	buffer_store_dword v25, off, s[28:31], 0 offset:440 ; 4-byte Folded Spill
	v_add_co_u32 v25, null, 0x230, v112
	ds_write_b128 v0, v[77:80]
	buffer_store_dword v0, off, s[28:31], 0 offset:408 ; 4-byte Folded Spill
	ds_write_b128 v0, v[29:32] offset:16
	v_lshl_add_u32 v0, v26, 5, v93
	v_lshlrev_b32_e32 v2, 1, v112
	v_lshl_add_u32 v3, v25, 5, v93
	v_and_b32_e32 v9, 1, v112
	v_lshl_add_u32 v4, v89, 5, v93
	ds_write_b128 v0, v[41:44]
	buffer_store_dword v0, off, s[28:31], 0 offset:396 ; 4-byte Folded Spill
	ds_write_b128 v0, v[37:40] offset:16
	v_add_nc_u32_e32 v0, 0x540, v2
	v_add_nc_u32_e32 v1, 0x620, v2
	ds_write_b128 v3, v[45:48]
	buffer_store_dword v3, off, s[28:31], 0 offset:392 ; 4-byte Folded Spill
	ds_write_b128 v3, v[49:52] offset:16
	v_lshl_add_u32 v6, v0, 4, v93
	v_lshl_add_u32 v5, v1, 4, v93
	v_lshlrev_b32_e32 v3, 4, v9
	ds_write_b128 v6, v[57:60]
	buffer_store_dword v6, off, s[28:31], 0 offset:388 ; 4-byte Folded Spill
	ds_write_b128 v6, v[65:68] offset:16
	ds_write_b128 v5, v[61:64]
	buffer_store_dword v5, off, s[28:31], 0 offset:384 ; 4-byte Folded Spill
	ds_write_b128 v5, v[73:76] offset:16
	;; [unrolled: 3-line block ×3, first 2 shown]
	s_waitcnt lgkmcnt(0)
	s_waitcnt_vscnt null, 0x0
	s_barrier
	buffer_gl0_inv
	global_load_dwordx4 v[132:135], v3, s[14:15]
	ds_read_b128 v[3:6], v92 offset:16128
	ds_read_b128 v[10:13], v92 offset:14336
	;; [unrolled: 1-line block ×4, first 2 shown]
	s_waitcnt vmcnt(0) lgkmcnt(3)
	v_mul_f64 v[7:8], v[5:6], v[134:135]
	v_mul_f64 v[22:23], v[3:4], v[134:135]
	v_fma_f64 v[7:8], v[3:4], v[132:133], -v[7:8]
	v_fma_f64 v[22:23], v[5:6], v[132:133], v[22:23]
	s_waitcnt lgkmcnt(1)
	v_mul_f64 v[3:4], v[16:17], v[134:135]
	v_mul_f64 v[5:6], v[14:15], v[134:135]
	v_fma_f64 v[29:30], v[14:15], v[132:133], -v[3:4]
	v_fma_f64 v[31:32], v[16:17], v[132:133], v[5:6]
	s_waitcnt lgkmcnt(0)
	v_mul_f64 v[3:4], v[20:21], v[134:135]
	v_mul_f64 v[5:6], v[18:19], v[134:135]
	v_fma_f64 v[41:42], v[18:19], v[132:133], -v[3:4]
	v_fma_f64 v[43:44], v[20:21], v[132:133], v[5:6]
	ds_read_b128 v[3:6], v92 offset:21504
	ds_read_b128 v[14:17], v92 offset:23296
	s_waitcnt lgkmcnt(1)
	v_mul_f64 v[18:19], v[5:6], v[134:135]
	v_fma_f64 v[45:46], v[3:4], v[132:133], -v[18:19]
	v_mul_f64 v[3:4], v[3:4], v[134:135]
	v_fma_f64 v[47:48], v[5:6], v[132:133], v[3:4]
	s_waitcnt lgkmcnt(0)
	v_mul_f64 v[3:4], v[16:17], v[134:135]
	v_fma_f64 v[53:54], v[14:15], v[132:133], -v[3:4]
	v_mul_f64 v[3:4], v[14:15], v[134:135]
	v_fma_f64 v[63:64], v[16:17], v[132:133], v[3:4]
	ds_read_b128 v[3:6], v92 offset:25088
	ds_read_b128 v[14:17], v92 offset:26880
	s_waitcnt lgkmcnt(1)
	v_mul_f64 v[18:19], v[5:6], v[134:135]
	v_fma_f64 v[65:66], v[3:4], v[132:133], -v[18:19]
	v_mul_f64 v[3:4], v[3:4], v[134:135]
	v_fma_f64 v[67:68], v[5:6], v[132:133], v[3:4]
	s_waitcnt lgkmcnt(0)
	v_mul_f64 v[3:4], v[16:17], v[134:135]
	v_fma_f64 v[77:78], v[14:15], v[132:133], -v[3:4]
	v_mul_f64 v[3:4], v[14:15], v[134:135]
	;; [unrolled: 12-line block ×3, first 2 shown]
	v_add_f64 v[85:86], v[10:11], -v[85:86]
	v_fma_f64 v[87:88], v[16:17], v[132:133], v[3:4]
	ds_read_b128 v[3:6], v92
	ds_read_b128 v[14:17], v92 offset:1792
	ds_read_b128 v[33:36], v92 offset:3584
	;; [unrolled: 1-line block ×7, first 2 shown]
	s_waitcnt lgkmcnt(0)
	s_barrier
	buffer_gl0_inv
	buffer_store_dword v89, off, s[28:31], 0 offset:12 ; 4-byte Folded Spill
	v_add_f64 v[18:19], v[3:4], -v[7:8]
	v_add_f64 v[20:21], v[5:6], -v[22:23]
	;; [unrolled: 1-line block ×6, first 2 shown]
	v_and_or_b32 v7, 0xfc, v2, v9
	v_add_f64 v[45:46], v[37:38], -v[45:46]
	v_add_f64 v[47:48], v[39:40], -v[47:48]
	;; [unrolled: 1-line block ×4, first 2 shown]
	v_lshl_add_u32 v7, v7, 4, v93
	v_add_f64 v[65:66], v[57:58], -v[65:66]
	v_add_f64 v[67:68], v[59:60], -v[67:68]
	;; [unrolled: 1-line block ×4, first 2 shown]
	buffer_store_dword v7, off, s[28:31], 0 offset:480 ; 4-byte Folded Spill
	v_add_f64 v[81:82], v[73:74], -v[81:82]
	v_add_f64 v[83:84], v[75:76], -v[83:84]
	;; [unrolled: 1-line block ×3, first 2 shown]
	v_fma_f64 v[10:11], v[10:11], 2.0, -v[85:86]
	v_fma_f64 v[3:4], v[3:4], 2.0, -v[18:19]
	v_fma_f64 v[5:6], v[5:6], 2.0, -v[20:21]
	v_fma_f64 v[14:15], v[14:15], 2.0, -v[29:30]
	v_fma_f64 v[16:17], v[16:17], 2.0, -v[31:32]
	v_fma_f64 v[33:34], v[33:34], 2.0, -v[41:42]
	v_fma_f64 v[35:36], v[35:36], 2.0, -v[43:44]
	ds_write_b128 v7, v[18:21] offset:32
	v_fma_f64 v[37:38], v[37:38], 2.0, -v[45:46]
	v_fma_f64 v[39:40], v[39:40], 2.0, -v[47:48]
	;; [unrolled: 1-line block ×11, first 2 shown]
	ds_write_b128 v7, v[3:6]
	v_lshlrev_b32_e32 v3, 1, v28
	v_and_or_b32 v4, 0x1fc, v3, v9
	v_lshl_add_u32 v4, v4, 4, v93
	ds_write_b128 v4, v[14:17]
	buffer_store_dword v4, off, s[28:31], 0 offset:472 ; 4-byte Folded Spill
	ds_write_b128 v4, v[29:32] offset:32
	v_lshlrev_b32_e32 v4, 1, v56
	v_and_or_b32 v5, 0x3fc, v4, v9
	v_lshl_add_u32 v5, v5, 4, v93
	ds_write_b128 v5, v[33:36]
	buffer_store_dword v5, off, s[28:31], 0 offset:464 ; 4-byte Folded Spill
	ds_write_b128 v5, v[41:44] offset:32
	;; [unrolled: 6-line block ×5, first 2 shown]
	v_and_or_b32 v8, 0x7fc, v0, v9
	v_lshl_add_u32 v8, v8, 4, v93
	ds_write_b128 v8, v[69:72]
	buffer_store_dword v8, off, s[28:31], 0 offset:412 ; 4-byte Folded Spill
	ds_write_b128 v8, v[77:80] offset:32
	v_and_or_b32 v8, 0x7fc, v1, v9
	v_lshl_add_u32 v8, v8, 4, v93
	ds_write_b128 v8, v[73:76]
	buffer_store_dword v8, off, s[28:31], 0 offset:404 ; 4-byte Folded Spill
	ds_write_b128 v8, v[81:84] offset:32
	v_lshlrev_b32_e32 v8, 1, v89
	v_and_or_b32 v9, 0x7fc, v8, v9
	v_lshl_add_u32 v14, v9, 4, v93
	v_and_b32_e32 v9, 3, v112
	ds_write_b128 v14, v[10:13]
	v_lshlrev_b32_e32 v10, 4, v9
	buffer_store_dword v14, off, s[28:31], 0 offset:400 ; 4-byte Folded Spill
	ds_write_b128 v14, v[85:88] offset:32
	s_waitcnt lgkmcnt(0)
	s_waitcnt_vscnt null, 0x0
	s_barrier
	buffer_gl0_inv
	global_load_dwordx4 v[168:171], v10, s[14:15] offset:32
	ds_read_b128 v[10:13], v92 offset:16128
	ds_read_b128 v[14:17], v92 offset:14336
	s_waitcnt vmcnt(0) lgkmcnt(1)
	v_mul_f64 v[18:19], v[12:13], v[170:171]
	v_fma_f64 v[22:23], v[10:11], v[168:169], -v[18:19]
	v_mul_f64 v[10:11], v[10:11], v[170:171]
	v_fma_f64 v[31:32], v[12:13], v[168:169], v[10:11]
	ds_read_b128 v[10:13], v92 offset:17920
	ds_read_b128 v[18:21], v92 offset:19712
	s_waitcnt lgkmcnt(1)
	v_mul_f64 v[29:30], v[12:13], v[170:171]
	v_fma_f64 v[33:34], v[10:11], v[168:169], -v[29:30]
	v_mul_f64 v[10:11], v[10:11], v[170:171]
	v_fma_f64 v[35:36], v[12:13], v[168:169], v[10:11]
	s_waitcnt lgkmcnt(0)
	v_mul_f64 v[10:11], v[20:21], v[170:171]
	v_fma_f64 v[45:46], v[18:19], v[168:169], -v[10:11]
	v_mul_f64 v[10:11], v[18:19], v[170:171]
	v_fma_f64 v[47:48], v[20:21], v[168:169], v[10:11]
	ds_read_b128 v[10:13], v92 offset:21504
	ds_read_b128 v[18:21], v92 offset:23296
	s_waitcnt lgkmcnt(1)
	v_mul_f64 v[29:30], v[12:13], v[170:171]
	v_fma_f64 v[49:50], v[10:11], v[168:169], -v[29:30]
	v_mul_f64 v[10:11], v[10:11], v[170:171]
	v_fma_f64 v[51:52], v[12:13], v[168:169], v[10:11]
	s_waitcnt lgkmcnt(0)
	;; [unrolled: 12-line block ×4, first 2 shown]
	v_mul_f64 v[10:11], v[20:21], v[170:171]
	v_fma_f64 v[89:90], v[18:19], v[168:169], -v[10:11]
	v_mul_f64 v[10:11], v[18:19], v[170:171]
	v_add_f64 v[94:95], v[14:15], -v[89:90]
	v_fma_f64 v[96:97], v[20:21], v[168:169], v[10:11]
	ds_read_b128 v[10:13], v92
	ds_read_b128 v[18:21], v92 offset:1792
	ds_read_b128 v[37:40], v92 offset:3584
	;; [unrolled: 1-line block ×7, first 2 shown]
	s_waitcnt lgkmcnt(0)
	s_barrier
	buffer_gl0_inv
	v_add_f64 v[29:30], v[10:11], -v[22:23]
	v_add_f64 v[31:32], v[12:13], -v[31:32]
	;; [unrolled: 1-line block ×8, first 2 shown]
	v_and_or_b32 v22, 0xf8, v2, v9
	v_add_f64 v[65:66], v[57:58], -v[53:54]
	v_add_f64 v[67:68], v[59:60], -v[67:68]
	;; [unrolled: 1-line block ×4, first 2 shown]
	v_lshl_add_u32 v22, v22, 4, v93
	v_add_f64 v[81:82], v[73:74], -v[81:82]
	v_add_f64 v[83:84], v[75:76], -v[83:84]
	;; [unrolled: 1-line block ×5, first 2 shown]
	v_fma_f64 v[14:15], v[14:15], 2.0, -v[94:95]
	buffer_store_dword v22, off, s[28:31], 0 offset:508 ; 4-byte Folded Spill
	v_fma_f64 v[10:11], v[10:11], 2.0, -v[29:30]
	v_fma_f64 v[12:13], v[12:13], 2.0, -v[31:32]
	;; [unrolled: 1-line block ×8, first 2 shown]
	ds_write_b128 v22, v[29:32] offset:64
	v_fma_f64 v[57:58], v[57:58], 2.0, -v[65:66]
	v_fma_f64 v[59:60], v[59:60], 2.0, -v[67:68]
	;; [unrolled: 1-line block ×9, first 2 shown]
	ds_write_b128 v22, v[10:13]
	v_and_or_b32 v10, 0x1f8, v3, v9
	v_lshl_add_u32 v10, v10, 4, v93
	ds_write_b128 v10, v[18:21]
	buffer_store_dword v10, off, s[28:31], 0 offset:500 ; 4-byte Folded Spill
	ds_write_b128 v10, v[33:36] offset:64
	v_and_or_b32 v10, 0x3f8, v4, v9
	v_lshl_add_u32 v10, v10, 4, v93
	ds_write_b128 v10, v[37:40]
	buffer_store_dword v10, off, s[28:31], 0 offset:492 ; 4-byte Folded Spill
	ds_write_b128 v10, v[45:48] offset:64
	;; [unrolled: 5-line block ×6, first 2 shown]
	v_and_or_b32 v10, 0x7f8, v1, v9
	v_and_or_b32 v9, 0x7f8, v8, v9
	v_lshl_add_u32 v10, v10, 4, v93
	v_lshl_add_u32 v9, v9, 4, v93
	ds_write_b128 v10, v[77:80]
	ds_write_b128 v10, v[85:88] offset:64
	ds_write_b128 v9, v[14:17]
	buffer_store_dword v9, off, s[28:31], 0 offset:420 ; 4-byte Folded Spill
	ds_write_b128 v9, v[94:97] offset:64
	v_and_b32_e32 v9, 7, v112
	buffer_store_dword v10, off, s[28:31], 0 offset:432 ; 4-byte Folded Spill
	s_waitcnt lgkmcnt(0)
	s_waitcnt_vscnt null, 0x0
	s_barrier
	buffer_gl0_inv
	v_lshlrev_b32_e32 v10, 4, v9
	global_load_dwordx4 v[184:187], v10, s[14:15] offset:96
	ds_read_b128 v[10:13], v92 offset:16128
	ds_read_b128 v[14:17], v92 offset:14336
	s_waitcnt vmcnt(0) lgkmcnt(1)
	v_mul_f64 v[18:19], v[12:13], v[186:187]
	v_fma_f64 v[22:23], v[10:11], v[184:185], -v[18:19]
	v_mul_f64 v[10:11], v[10:11], v[186:187]
	v_fma_f64 v[31:32], v[12:13], v[184:185], v[10:11]
	ds_read_b128 v[10:13], v92 offset:17920
	ds_read_b128 v[18:21], v92 offset:19712
	s_waitcnt lgkmcnt(1)
	v_mul_f64 v[29:30], v[12:13], v[186:187]
	v_fma_f64 v[33:34], v[10:11], v[184:185], -v[29:30]
	v_mul_f64 v[10:11], v[10:11], v[186:187]
	v_fma_f64 v[35:36], v[12:13], v[184:185], v[10:11]
	s_waitcnt lgkmcnt(0)
	v_mul_f64 v[10:11], v[20:21], v[186:187]
	v_fma_f64 v[45:46], v[18:19], v[184:185], -v[10:11]
	v_mul_f64 v[10:11], v[18:19], v[186:187]
	v_fma_f64 v[47:48], v[20:21], v[184:185], v[10:11]
	ds_read_b128 v[10:13], v92 offset:21504
	ds_read_b128 v[18:21], v92 offset:23296
	s_waitcnt lgkmcnt(1)
	v_mul_f64 v[29:30], v[12:13], v[186:187]
	v_fma_f64 v[49:50], v[10:11], v[184:185], -v[29:30]
	v_mul_f64 v[10:11], v[10:11], v[186:187]
	v_fma_f64 v[51:52], v[12:13], v[184:185], v[10:11]
	s_waitcnt lgkmcnt(0)
	;; [unrolled: 12-line block ×4, first 2 shown]
	v_mul_f64 v[10:11], v[20:21], v[186:187]
	v_fma_f64 v[89:90], v[18:19], v[184:185], -v[10:11]
	v_mul_f64 v[10:11], v[18:19], v[186:187]
	v_add_f64 v[94:95], v[14:15], -v[89:90]
	v_fma_f64 v[96:97], v[20:21], v[184:185], v[10:11]
	ds_read_b128 v[10:13], v92
	ds_read_b128 v[18:21], v92 offset:1792
	ds_read_b128 v[37:40], v92 offset:3584
	ds_read_b128 v[41:44], v92 offset:5376
	ds_read_b128 v[57:60], v92 offset:7168
	ds_read_b128 v[61:64], v92 offset:8960
	ds_read_b128 v[73:76], v92 offset:10752
	ds_read_b128 v[77:80], v92 offset:12544
	s_waitcnt lgkmcnt(0)
	s_barrier
	buffer_gl0_inv
	v_add_f64 v[29:30], v[10:11], -v[22:23]
	v_add_f64 v[31:32], v[12:13], -v[31:32]
	v_add_f64 v[33:34], v[18:19], -v[33:34]
	v_add_f64 v[35:36], v[20:21], -v[35:36]
	v_add_f64 v[45:46], v[37:38], -v[45:46]
	v_add_f64 v[47:48], v[39:40], -v[47:48]
	v_add_f64 v[49:50], v[41:42], -v[49:50]
	v_add_f64 v[51:52], v[43:44], -v[51:52]
	v_and_or_b32 v22, 0xf0, v2, v9
	v_add_f64 v[65:66], v[57:58], -v[53:54]
	v_add_f64 v[67:68], v[59:60], -v[67:68]
	;; [unrolled: 1-line block ×4, first 2 shown]
	v_lshl_add_u32 v22, v22, 4, v93
	v_add_f64 v[81:82], v[73:74], -v[81:82]
	v_add_f64 v[83:84], v[75:76], -v[83:84]
	;; [unrolled: 1-line block ×5, first 2 shown]
	v_fma_f64 v[14:15], v[14:15], 2.0, -v[94:95]
	buffer_store_dword v22, off, s[28:31], 0 offset:520 ; 4-byte Folded Spill
	v_fma_f64 v[10:11], v[10:11], 2.0, -v[29:30]
	v_fma_f64 v[12:13], v[12:13], 2.0, -v[31:32]
	;; [unrolled: 1-line block ×8, first 2 shown]
	ds_write_b128 v22, v[29:32] offset:128
	v_fma_f64 v[57:58], v[57:58], 2.0, -v[65:66]
	v_fma_f64 v[59:60], v[59:60], 2.0, -v[67:68]
	;; [unrolled: 1-line block ×9, first 2 shown]
	ds_write_b128 v22, v[10:13]
	v_and_or_b32 v10, 0x1f0, v3, v9
	v_lshl_add_u32 v10, v10, 4, v93
	ds_write_b128 v10, v[18:21]
	buffer_store_dword v10, off, s[28:31], 0 offset:516 ; 4-byte Folded Spill
	ds_write_b128 v10, v[33:36] offset:128
	v_and_or_b32 v10, 0x3f0, v4, v9
	v_lshl_add_u32 v10, v10, 4, v93
	ds_write_b128 v10, v[37:40]
	buffer_store_dword v10, off, s[28:31], 0 offset:512 ; 4-byte Folded Spill
	ds_write_b128 v10, v[45:48] offset:128
	;; [unrolled: 5-line block ×6, first 2 shown]
	v_and_or_b32 v10, 0x7f0, v1, v9
	v_and_or_b32 v9, 0x7f0, v8, v9
	v_lshl_add_u32 v10, v10, 4, v93
	v_lshl_add_u32 v9, v9, 4, v93
	ds_write_b128 v10, v[77:80]
	ds_write_b128 v10, v[85:88] offset:128
	ds_write_b128 v9, v[14:17]
	buffer_store_dword v9, off, s[28:31], 0 offset:448 ; 4-byte Folded Spill
	ds_write_b128 v9, v[94:97] offset:128
	v_and_b32_e32 v9, 15, v112
	buffer_store_dword v10, off, s[28:31], 0 offset:456 ; 4-byte Folded Spill
	s_waitcnt lgkmcnt(0)
	s_waitcnt_vscnt null, 0x0
	s_barrier
	buffer_gl0_inv
	v_lshlrev_b32_e32 v10, 4, v9
	v_and_or_b32 v2, 0xe0, v2, v9
	v_and_or_b32 v0, 0x7e0, v0, v9
	global_load_dwordx4 v[200:203], v10, s[14:15] offset:224
	ds_read_b128 v[10:13], v92 offset:16128
	ds_read_b128 v[14:17], v92 offset:14336
	v_lshl_add_u32 v2, v2, 4, v93
	v_lshl_add_u32 v0, v0, 4, v93
	s_waitcnt vmcnt(0) lgkmcnt(1)
	v_mul_f64 v[18:19], v[12:13], v[202:203]
	v_fma_f64 v[22:23], v[10:11], v[200:201], -v[18:19]
	v_mul_f64 v[10:11], v[10:11], v[202:203]
	v_fma_f64 v[31:32], v[12:13], v[200:201], v[10:11]
	ds_read_b128 v[10:13], v92 offset:17920
	ds_read_b128 v[18:21], v92 offset:19712
	s_waitcnt lgkmcnt(1)
	v_mul_f64 v[29:30], v[12:13], v[202:203]
	v_fma_f64 v[33:34], v[10:11], v[200:201], -v[29:30]
	v_mul_f64 v[10:11], v[10:11], v[202:203]
	v_fma_f64 v[35:36], v[12:13], v[200:201], v[10:11]
	s_waitcnt lgkmcnt(0)
	v_mul_f64 v[10:11], v[20:21], v[202:203]
	v_fma_f64 v[45:46], v[18:19], v[200:201], -v[10:11]
	v_mul_f64 v[10:11], v[18:19], v[202:203]
	v_fma_f64 v[47:48], v[20:21], v[200:201], v[10:11]
	ds_read_b128 v[10:13], v92 offset:21504
	ds_read_b128 v[18:21], v92 offset:23296
	s_waitcnt lgkmcnt(1)
	v_mul_f64 v[29:30], v[12:13], v[202:203]
	v_fma_f64 v[49:50], v[10:11], v[200:201], -v[29:30]
	v_mul_f64 v[10:11], v[10:11], v[202:203]
	v_fma_f64 v[51:52], v[12:13], v[200:201], v[10:11]
	s_waitcnt lgkmcnt(0)
	v_mul_f64 v[10:11], v[20:21], v[202:203]
	v_fma_f64 v[53:54], v[18:19], v[200:201], -v[10:11]
	v_mul_f64 v[10:11], v[18:19], v[202:203]
	v_fma_f64 v[67:68], v[20:21], v[200:201], v[10:11]
	ds_read_b128 v[10:13], v92 offset:25088
	ds_read_b128 v[18:21], v92 offset:26880
	s_waitcnt lgkmcnt(1)
	v_mul_f64 v[29:30], v[12:13], v[202:203]
	v_fma_f64 v[69:70], v[10:11], v[200:201], -v[29:30]
	v_mul_f64 v[10:11], v[10:11], v[202:203]
	v_fma_f64 v[71:72], v[12:13], v[200:201], v[10:11]
	s_waitcnt lgkmcnt(0)
	v_mul_f64 v[10:11], v[20:21], v[202:203]
	v_fma_f64 v[81:82], v[18:19], v[200:201], -v[10:11]
	v_mul_f64 v[10:11], v[18:19], v[202:203]
	v_fma_f64 v[83:84], v[20:21], v[200:201], v[10:11]
	ds_read_b128 v[10:13], v92 offset:28672
	ds_read_b128 v[18:21], v92 offset:30464
	s_waitcnt lgkmcnt(1)
	v_mul_f64 v[29:30], v[12:13], v[202:203]
	v_fma_f64 v[85:86], v[10:11], v[200:201], -v[29:30]
	v_mul_f64 v[10:11], v[10:11], v[202:203]
	v_fma_f64 v[87:88], v[12:13], v[200:201], v[10:11]
	s_waitcnt lgkmcnt(0)
	v_mul_f64 v[10:11], v[20:21], v[202:203]
	v_fma_f64 v[89:90], v[18:19], v[200:201], -v[10:11]
	v_mul_f64 v[10:11], v[18:19], v[202:203]
	v_add_f64 v[94:95], v[14:15], -v[89:90]
	v_fma_f64 v[96:97], v[20:21], v[200:201], v[10:11]
	ds_read_b128 v[10:13], v92
	ds_read_b128 v[18:21], v92 offset:1792
	ds_read_b128 v[37:40], v92 offset:3584
	;; [unrolled: 1-line block ×7, first 2 shown]
	s_waitcnt lgkmcnt(0)
	s_barrier
	buffer_gl0_inv
	buffer_store_dword v2, off, s[28:31], 0 offset:564 ; 4-byte Folded Spill
	buffer_store_dword v0, off, s[28:31], 0 offset:524 ; 4-byte Folded Spill
	v_add_f64 v[29:30], v[10:11], -v[22:23]
	v_add_f64 v[31:32], v[12:13], -v[31:32]
	;; [unrolled: 1-line block ×17, first 2 shown]
	v_fma_f64 v[14:15], v[14:15], 2.0, -v[94:95]
	v_fma_f64 v[10:11], v[10:11], 2.0, -v[29:30]
	;; [unrolled: 1-line block ×7, first 2 shown]
	ds_write_b128 v2, v[29:32] offset:256
	v_fma_f64 v[41:42], v[41:42], 2.0, -v[49:50]
	v_fma_f64 v[43:44], v[43:44], 2.0, -v[51:52]
	;; [unrolled: 1-line block ×11, first 2 shown]
	v_and_b32_e32 v29, 31, v112
	v_and_b32_e32 v31, 31, v28
	v_and_b32_e32 v30, 31, v25
	ds_write_b128 v2, v[10:13]
	v_and_or_b32 v2, 0x1e0, v3, v9
	v_lshl_add_u32 v2, v2, 4, v93
	ds_write_b128 v2, v[18:21]
	buffer_store_dword v2, off, s[28:31], 0 offset:560 ; 4-byte Folded Spill
	ds_write_b128 v2, v[33:36] offset:256
	v_and_or_b32 v2, 0x3e0, v4, v9
	v_lshlrev_b32_e32 v34, 5, v30
	v_lshl_add_u32 v2, v2, 4, v93
	ds_write_b128 v2, v[37:40]
	buffer_store_dword v2, off, s[28:31], 0 offset:556 ; 4-byte Folded Spill
	ds_write_b128 v2, v[45:48] offset:256
	v_and_or_b32 v2, 0x3e0, v5, v9
	v_lshl_add_u32 v2, v2, 4, v93
	ds_write_b128 v2, v[41:44]
	buffer_store_dword v2, off, s[28:31], 0 offset:552 ; 4-byte Folded Spill
	ds_write_b128 v2, v[49:52] offset:256
	v_and_or_b32 v2, 0x7e0, v6, v9
	;; [unrolled: 5-line block ×3, first 2 shown]
	v_lshl_add_u32 v2, v2, 4, v93
	ds_write_b128 v2, v[61:64]
	ds_write_b128 v2, v[69:72] offset:256
	ds_write_b128 v0, v[73:76]
	ds_write_b128 v0, v[81:84] offset:256
	v_and_or_b32 v0, 0x7e0, v1, v9
	buffer_store_dword v2, off, s[28:31], 0 offset:536 ; 4-byte Folded Spill
	v_lshl_add_u32 v0, v0, 4, v93
	ds_write_b128 v0, v[77:80]
	buffer_store_dword v0, off, s[28:31], 0 offset:528 ; 4-byte Folded Spill
	ds_write_b128 v0, v[85:88] offset:256
	v_and_or_b32 v0, 0x7e0, v8, v9
	v_lshl_add_u32 v0, v0, 4, v93
	ds_write_b128 v0, v[14:17]
	buffer_store_dword v0, off, s[28:31], 0 offset:532 ; 4-byte Folded Spill
	ds_write_b128 v0, v[94:97] offset:256
	v_lshlrev_b32_e32 v0, 5, v29
	s_waitcnt lgkmcnt(0)
	s_waitcnt_vscnt null, 0x0
	s_barrier
	buffer_gl0_inv
	s_clause 0x1
	global_load_dwordx4 v[208:211], v0, s[14:15] offset:480
	global_load_dwordx4 v[212:215], v0, s[14:15] offset:496
	ds_read_b128 v[0:3], v92 offset:10752
	ds_read_b128 v[4:7], v92 offset:12544
	s_waitcnt vmcnt(1) lgkmcnt(1)
	v_mul_f64 v[8:9], v[2:3], v[210:211]
	v_fma_f64 v[12:13], v[0:1], v[208:209], -v[8:9]
	v_mul_f64 v[0:1], v[0:1], v[210:211]
	v_fma_f64 v[14:15], v[2:3], v[208:209], v[0:1]
	ds_read_b128 v[0:3], v92 offset:21504
	ds_read_b128 v[8:11], v92 offset:23296
	s_waitcnt vmcnt(0) lgkmcnt(1)
	v_mul_f64 v[16:17], v[2:3], v[214:215]
	v_fma_f64 v[16:17], v[0:1], v[212:213], -v[16:17]
	v_mul_f64 v[0:1], v[0:1], v[214:215]
	v_fma_f64 v[18:19], v[2:3], v[212:213], v[0:1]
	v_lshlrev_b32_e32 v0, 5, v31
	s_clause 0x1
	global_load_dwordx2 v[2:3], v0, s[14:15] offset:480
	global_load_dwordx4 v[220:223], v34, s[14:15] offset:480
	s_waitcnt vmcnt(0)
	v_mul_f64 v[0:1], v[6:7], v[222:223]
	v_fma_f64 v[45:46], v[4:5], v[2:3], -v[0:1]
	buffer_store_dword v2, off, s[28:31], 0 offset:568 ; 4-byte Folded Spill
	buffer_store_dword v3, off, s[28:31], 0 offset:572 ; 4-byte Folded Spill
	s_clause 0x1
	global_load_dwordx4 v[216:219], v34, s[14:15] offset:496
	global_load_dwordx4 v[224:227], v34, s[14:15] offset:488
	v_mul_f64 v[0:1], v[4:5], v[222:223]
	v_fma_f64 v[20:21], v[6:7], v[2:3], v[0:1]
	s_waitcnt vmcnt(1) lgkmcnt(0)
	v_mul_f64 v[0:1], v[10:11], v[218:219]
	s_waitcnt vmcnt(0)
	v_fma_f64 v[47:48], v[8:9], v[226:227], -v[0:1]
	v_mul_f64 v[0:1], v[8:9], v[218:219]
	v_fma_f64 v[22:23], v[10:11], v[226:227], v[0:1]
	ds_read_b128 v[0:3], v92 offset:14336
	ds_read_b128 v[4:7], v92 offset:16128
	s_waitcnt lgkmcnt(1)
	v_mul_f64 v[8:9], v[2:3], v[210:211]
	v_fma_f64 v[49:50], v[0:1], v[208:209], -v[8:9]
	v_mul_f64 v[0:1], v[0:1], v[210:211]
	v_fma_f64 v[51:52], v[2:3], v[208:209], v[0:1]
	ds_read_b128 v[0:3], v92 offset:25088
	ds_read_b128 v[8:11], v92 offset:26880
	s_waitcnt lgkmcnt(1)
	v_mul_f64 v[32:33], v[2:3], v[214:215]
	v_fma_f64 v[53:54], v[0:1], v[212:213], -v[32:33]
	v_mul_f64 v[0:1], v[0:1], v[214:215]
	v_and_b32_e32 v32, 31, v27
	v_fma_f64 v[57:58], v[2:3], v[212:213], v[0:1]
	v_lshlrev_b32_e32 v2, 5, v32
	s_clause 0x2
	global_load_dwordx2 v[35:36], v34, s[14:15] offset:504
	global_load_dwordx4 v[232:235], v2, s[14:15] offset:480
	global_load_dwordx4 v[228:231], v2, s[14:15] offset:496
	s_waitcnt vmcnt(1)
	v_mul_f64 v[0:1], v[6:7], v[234:235]
	v_fma_f64 v[59:60], v[4:5], v[232:233], -v[0:1]
	v_mul_f64 v[0:1], v[4:5], v[234:235]
	v_fma_f64 v[61:62], v[6:7], v[232:233], v[0:1]
	s_waitcnt vmcnt(0) lgkmcnt(0)
	v_mul_f64 v[0:1], v[10:11], v[230:231]
	v_fma_f64 v[63:64], v[8:9], v[228:229], -v[0:1]
	v_mul_f64 v[0:1], v[8:9], v[230:231]
	v_fma_f64 v[65:66], v[10:11], v[228:229], v[0:1]
	ds_read_b128 v[0:3], v92 offset:17920
	ds_read_b128 v[4:7], v92 offset:19712
	s_waitcnt lgkmcnt(1)
	v_mul_f64 v[8:9], v[2:3], v[210:211]
	v_fma_f64 v[69:70], v[0:1], v[208:209], -v[8:9]
	v_mul_f64 v[0:1], v[0:1], v[210:211]
	v_fma_f64 v[71:72], v[2:3], v[208:209], v[0:1]
	ds_read_b128 v[0:3], v92 offset:28672
	ds_read_b128 v[8:11], v92 offset:30464
	s_waitcnt lgkmcnt(1)
	v_mul_f64 v[33:34], v[2:3], v[214:215]
	v_fma_f64 v[73:74], v[0:1], v[212:213], -v[33:34]
	v_mul_f64 v[0:1], v[0:1], v[214:215]
	v_fma_f64 v[75:76], v[2:3], v[212:213], v[0:1]
	v_mul_f64 v[0:1], v[6:7], v[224:225]
	v_add_f64 v[85:86], v[71:72], v[75:76]
	v_fma_f64 v[77:78], v[4:5], v[220:221], -v[0:1]
	v_mul_f64 v[0:1], v[4:5], v[224:225]
	v_fma_f64 v[79:80], v[6:7], v[220:221], v[0:1]
	s_waitcnt lgkmcnt(0)
	v_mul_f64 v[0:1], v[10:11], v[35:36]
	buffer_store_dword v35, off, s[28:31], 0 offset:544 ; 4-byte Folded Spill
	buffer_store_dword v36, off, s[28:31], 0 offset:548 ; 4-byte Folded Spill
	v_fma_f64 v[81:82], v[8:9], v[216:217], -v[0:1]
	v_mul_f64 v[0:1], v[8:9], v[35:36]
	v_add_f64 v[8:9], v[12:13], v[16:17]
	v_fma_f64 v[83:84], v[10:11], v[216:217], v[0:1]
	ds_read_b128 v[0:3], v92
	ds_read_b128 v[4:7], v92 offset:1792
	v_add_f64 v[10:11], v[14:15], v[18:19]
	s_waitcnt lgkmcnt(1)
	v_fma_f64 v[8:9], v[8:9], -0.5, v[0:1]
	v_add_f64 v[0:1], v[0:1], v[12:13]
	v_fma_f64 v[10:11], v[10:11], -0.5, v[2:3]
	v_add_f64 v[2:3], v[2:3], v[14:15]
	v_add_f64 v[14:15], v[14:15], -v[18:19]
	v_add_f64 v[33:34], v[0:1], v[16:17]
	v_add_f64 v[0:1], v[12:13], -v[16:17]
	v_add_f64 v[12:13], v[49:50], v[53:54]
	v_add_f64 v[35:36], v[2:3], v[18:19]
	;; [unrolled: 1-line block ×3, first 2 shown]
	v_fma_f64 v[37:38], v[14:15], s[0:1], v[8:9]
	v_fma_f64 v[41:42], v[14:15], s[2:3], v[8:9]
	v_add_f64 v[8:9], v[20:21], -v[22:23]
	v_add_f64 v[14:15], v[51:52], v[57:58]
	v_add_f64 v[18:19], v[51:52], -v[57:58]
	v_fma_f64 v[39:40], v[0:1], s[2:3], v[10:11]
	v_fma_f64 v[43:44], v[0:1], s[0:1], v[10:11]
	v_add_f64 v[0:1], v[45:46], v[47:48]
	v_add_f64 v[10:11], v[45:46], -v[47:48]
	s_waitcnt lgkmcnt(0)
	v_fma_f64 v[2:3], v[2:3], -0.5, v[6:7]
	v_add_f64 v[6:7], v[6:7], v[20:21]
	v_fma_f64 v[0:1], v[0:1], -0.5, v[4:5]
	v_add_f64 v[4:5], v[4:5], v[45:46]
	v_add_f64 v[22:23], v[6:7], v[22:23]
	v_fma_f64 v[6:7], v[10:11], s[2:3], v[2:3]
	v_fma_f64 v[2:3], v[10:11], s[0:1], v[2:3]
	v_add_f64 v[20:21], v[4:5], v[47:48]
	v_fma_f64 v[4:5], v[8:9], s[0:1], v[0:1]
	v_fma_f64 v[0:1], v[8:9], s[2:3], v[0:1]
	ds_read_b128 v[8:11], v92 offset:3584
	ds_read_b128 v[45:48], v92 offset:5376
	s_waitcnt lgkmcnt(1)
	v_fma_f64 v[12:13], v[12:13], -0.5, v[8:9]
	v_fma_f64 v[14:15], v[14:15], -0.5, v[10:11]
	v_add_f64 v[8:9], v[8:9], v[49:50]
	v_add_f64 v[49:50], v[49:50], -v[53:54]
	v_add_f64 v[10:11], v[10:11], v[51:52]
	v_fma_f64 v[16:17], v[18:19], s[0:1], v[12:13]
	v_fma_f64 v[12:13], v[18:19], s[2:3], v[12:13]
	v_add_f64 v[8:9], v[8:9], v[53:54]
	v_fma_f64 v[18:19], v[49:50], s[2:3], v[14:15]
	v_fma_f64 v[14:15], v[49:50], s[0:1], v[14:15]
	v_add_f64 v[49:50], v[59:60], v[63:64]
	v_add_f64 v[10:11], v[10:11], v[57:58]
	v_add_f64 v[57:58], v[61:62], -v[65:66]
	s_waitcnt lgkmcnt(0)
	v_fma_f64 v[51:52], v[49:50], -0.5, v[45:46]
	v_add_f64 v[49:50], v[61:62], v[65:66]
	v_add_f64 v[45:46], v[45:46], v[59:60]
	v_add_f64 v[59:60], v[59:60], -v[63:64]
	v_fma_f64 v[53:54], v[49:50], -0.5, v[47:48]
	v_add_f64 v[47:48], v[47:48], v[61:62]
	v_add_f64 v[45:46], v[45:46], v[63:64]
	v_fma_f64 v[49:50], v[57:58], s[0:1], v[51:52]
	v_fma_f64 v[57:58], v[57:58], s[2:3], v[51:52]
	;; [unrolled: 1-line block ×3, first 2 shown]
	v_add_f64 v[47:48], v[47:48], v[65:66]
	ds_read_b128 v[61:64], v92 offset:7168
	ds_read_b128 v[65:68], v92 offset:8960
	v_fma_f64 v[59:60], v[59:60], s[0:1], v[53:54]
	v_add_f64 v[53:54], v[69:70], v[73:74]
	s_waitcnt lgkmcnt(0)
	s_waitcnt_vscnt null, 0x0
	s_barrier
	buffer_gl0_inv
	v_fma_f64 v[85:86], v[85:86], -0.5, v[63:64]
	v_add_f64 v[63:64], v[63:64], v[71:72]
	v_add_f64 v[71:72], v[71:72], -v[75:76]
	v_fma_f64 v[53:54], v[53:54], -0.5, v[61:62]
	v_add_f64 v[61:62], v[61:62], v[69:70]
	v_add_f64 v[63:64], v[63:64], v[75:76]
	v_add_f64 v[75:76], v[69:70], -v[73:74]
	v_fma_f64 v[69:70], v[71:72], s[0:1], v[53:54]
	v_add_f64 v[61:62], v[61:62], v[73:74]
	v_fma_f64 v[73:74], v[71:72], s[2:3], v[53:54]
	v_add_f64 v[53:54], v[77:78], v[81:82]
	v_fma_f64 v[71:72], v[75:76], s[2:3], v[85:86]
	v_fma_f64 v[75:76], v[75:76], s[0:1], v[85:86]
	v_add_f64 v[85:86], v[79:80], v[83:84]
	v_fma_f64 v[53:54], v[53:54], -0.5, v[65:66]
	v_add_f64 v[65:66], v[65:66], v[77:78]
	v_fma_f64 v[85:86], v[85:86], -0.5, v[67:68]
	v_add_f64 v[67:68], v[67:68], v[79:80]
	v_add_f64 v[79:80], v[79:80], -v[83:84]
	v_add_f64 v[65:66], v[65:66], v[81:82]
	v_add_f64 v[67:68], v[67:68], v[83:84]
	v_add_f64 v[83:84], v[77:78], -v[81:82]
	v_fma_f64 v[77:78], v[79:80], s[0:1], v[53:54]
	v_fma_f64 v[81:82], v[79:80], s[2:3], v[53:54]
	v_lshrrev_b32_e32 v53, 5, v112
	v_mul_u32_u24_e32 v53, 0x60, v53
	v_or_b32_e32 v53, v53, v29
	v_lshl_add_u32 v53, v53, 4, v93
	ds_write_b128 v53, v[33:36]
	ds_write_b128 v53, v[37:40] offset:512
	v_lshrrev_b32_e32 v33, 5, v28
	buffer_store_dword v53, off, s[28:31], 0 offset:348 ; 4-byte Folded Spill
	ds_write_b128 v53, v[41:44] offset:1024
	v_fma_f64 v[79:80], v[83:84], s[2:3], v[85:86]
	v_fma_f64 v[83:84], v[83:84], s[0:1], v[85:86]
	v_mul_u32_u24_e32 v33, 0x60, v33
	v_or_b32_e32 v31, v33, v31
	v_lshl_add_u32 v31, v31, 4, v93
	ds_write_b128 v31, v[20:23]
	ds_write_b128 v31, v[4:7] offset:512
	ds_write_b128 v31, v[0:3] offset:1024
	v_lshrrev_b32_e32 v0, 5, v56
	buffer_store_dword v31, off, s[28:31], 0 offset:356 ; 4-byte Folded Spill
	v_mul_u32_u24_e32 v0, 0x60, v0
	v_or_b32_e32 v0, v0, v29
	v_lshl_add_u32 v0, v0, 4, v93
	ds_write_b128 v0, v[8:11]
	ds_write_b128 v0, v[16:19] offset:512
	buffer_store_dword v0, off, s[28:31], 0 offset:368 ; 4-byte Folded Spill
	ds_write_b128 v0, v[12:15] offset:1024
	v_lshrrev_b32_e32 v0, 5, v27
	v_mov_b32_e32 v19, 0xaaab
	v_mul_u32_u24_e32 v0, 0x60, v0
	v_or_b32_e32 v0, v0, v32
	v_lshl_add_u32 v0, v0, 4, v93
	ds_write_b128 v0, v[45:48]
	ds_write_b128 v0, v[49:52] offset:512
	buffer_store_dword v0, off, s[28:31], 0 offset:364 ; 4-byte Folded Spill
	ds_write_b128 v0, v[57:60] offset:1024
	v_lshrrev_b32_e32 v0, 5, v26
	v_mul_u32_u24_e32 v0, 0x60, v0
	v_or_b32_e32 v0, v0, v29
	v_lshl_add_u32 v0, v0, 4, v93
	ds_write_b128 v0, v[61:64]
	ds_write_b128 v0, v[69:72] offset:512
	buffer_store_dword v0, off, s[28:31], 0 offset:360 ; 4-byte Folded Spill
	ds_write_b128 v0, v[73:76] offset:1024
	v_lshrrev_b32_e32 v0, 5, v25
	v_mul_u32_u24_e32 v0, 0x60, v0
	v_or_b32_e32 v0, v0, v30
	v_lshl_add_u32 v0, v0, 4, v93
	ds_write_b128 v0, v[65:68]
	ds_write_b128 v0, v[77:80] offset:512
	buffer_store_dword v0, off, s[28:31], 0 offset:352 ; 4-byte Folded Spill
	ds_write_b128 v0, v[81:84] offset:1024
	v_add_co_u32 v0, s6, 0xffffffa0, v112
	v_add_co_ci_u32_e64 v1, null, 0, -1, s6
	s_waitcnt lgkmcnt(0)
	s_waitcnt_vscnt null, 0x0
	v_cndmask_b32_e32 v0, v0, v112, vcc_lo
	s_barrier
	v_cndmask_b32_e64 v1, v1, 0, vcc_lo
	buffer_gl0_inv
	v_lshlrev_b64 v[1:2], 5, v[0:1]
	v_add_co_u32 v1, vcc_lo, s14, v1
	v_add_co_ci_u32_e32 v2, vcc_lo, s15, v2, vcc_lo
	s_clause 0x1
	global_load_dwordx4 v[128:131], v[1:2], off offset:1504
	global_load_dwordx4 v[144:147], v[1:2], off offset:1520
	ds_read_b128 v[1:4], v92 offset:10752
	ds_read_b128 v[5:8], v92 offset:12544
	v_cmp_lt_u16_e32 vcc_lo, 0x5f, v24
	s_waitcnt vmcnt(1) lgkmcnt(1)
	v_mul_f64 v[9:10], v[3:4], v[130:131]
	v_fma_f64 v[13:14], v[1:2], v[128:129], -v[9:10]
	v_mul_f64 v[1:2], v[1:2], v[130:131]
	v_fma_f64 v[15:16], v[3:4], v[128:129], v[1:2]
	ds_read_b128 v[1:4], v92 offset:21504
	ds_read_b128 v[9:12], v92 offset:23296
	s_waitcnt vmcnt(0) lgkmcnt(1)
	v_mul_f64 v[17:18], v[3:4], v[146:147]
	v_fma_f64 v[20:21], v[1:2], v[144:145], -v[17:18]
	v_mul_f64 v[1:2], v[1:2], v[146:147]
	v_fma_f64 v[17:18], v[3:4], v[144:145], v[1:2]
	v_and_b32_e32 v1, 0xff, v28
	v_mul_lo_u16 v1, 0xab, v1
	v_lshrrev_b16 v55, 14, v1
	v_mul_lo_u16 v1, 0x60, v55
	v_sub_nc_u16 v83, v28, v1
	v_mov_b32_e32 v1, 5
	v_lshlrev_b32_sdwa v1, v1, v83 dst_sel:DWORD dst_unused:UNUSED_PAD src0_sel:DWORD src1_sel:BYTE_0
	s_clause 0x1
	global_load_dwordx4 v[172:175], v1, s[14:15] offset:1504
	global_load_dwordx4 v[160:163], v1, s[14:15] offset:1520
	s_waitcnt vmcnt(1)
	v_mul_f64 v[1:2], v[7:8], v[174:175]
	v_fma_f64 v[33:34], v[5:6], v[172:173], -v[1:2]
	v_mul_f64 v[1:2], v[5:6], v[174:175]
	v_fma_f64 v[29:30], v[7:8], v[172:173], v[1:2]
	s_waitcnt vmcnt(0) lgkmcnt(0)
	v_mul_f64 v[1:2], v[11:12], v[162:163]
	v_fma_f64 v[35:36], v[9:10], v[160:161], -v[1:2]
	v_mul_f64 v[1:2], v[9:10], v[162:163]
	v_fma_f64 v[31:32], v[11:12], v[160:161], v[1:2]
	v_mul_u32_u24_sdwa v1, v56, v19 dst_sel:DWORD dst_unused:UNUSED_PAD src0_sel:WORD_0 src1_sel:DWORD
	v_lshrrev_b32_e32 v84, 22, v1
	v_mul_lo_u16 v1, 0x60, v84
	v_sub_nc_u16 v85, v56, v1
	v_lshlrev_b16 v1, 5, v85
	v_and_b32_e32 v1, 0xffff, v1
	v_add_co_u32 v1, s6, s14, v1
	v_add_co_ci_u32_e64 v2, null, s15, 0, s6
	s_clause 0x1
	global_load_dwordx4 v[164:167], v[1:2], off offset:1504
	global_load_dwordx4 v[156:159], v[1:2], off offset:1520
	ds_read_b128 v[1:4], v92 offset:14336
	ds_read_b128 v[5:8], v92 offset:16128
	s_waitcnt vmcnt(1) lgkmcnt(1)
	v_mul_f64 v[9:10], v[3:4], v[166:167]
	v_fma_f64 v[45:46], v[1:2], v[164:165], -v[9:10]
	v_mul_f64 v[1:2], v[1:2], v[166:167]
	v_fma_f64 v[41:42], v[3:4], v[164:165], v[1:2]
	ds_read_b128 v[1:4], v92 offset:25088
	ds_read_b128 v[9:12], v92 offset:26880
	s_waitcnt vmcnt(0) lgkmcnt(1)
	v_mul_f64 v[22:23], v[3:4], v[158:159]
	v_fma_f64 v[47:48], v[1:2], v[156:157], -v[22:23]
	v_mul_f64 v[1:2], v[1:2], v[158:159]
	v_fma_f64 v[43:44], v[3:4], v[156:157], v[1:2]
	v_mul_u32_u24_sdwa v1, v27, v19 dst_sel:DWORD dst_unused:UNUSED_PAD src0_sel:WORD_0 src1_sel:DWORD
	v_lshrrev_b32_e32 v86, 22, v1
	v_mul_lo_u16 v1, 0x60, v86
	v_sub_nc_u16 v87, v27, v1
	v_lshlrev_b16 v1, 5, v87
	v_add_f64 v[49:50], v[41:42], -v[43:44]
	v_and_b32_e32 v1, 0xffff, v1
	v_add_co_u32 v1, s6, s14, v1
	v_add_co_ci_u32_e64 v2, null, s15, 0, s6
	s_clause 0x1
	global_load_dwordx4 v[188:191], v[1:2], off offset:1504
	global_load_dwordx4 v[180:183], v[1:2], off offset:1520
	s_waitcnt vmcnt(1)
	v_mul_f64 v[1:2], v[7:8], v[190:191]
	v_fma_f64 v[53:54], v[5:6], v[188:189], -v[1:2]
	v_mul_f64 v[1:2], v[5:6], v[190:191]
	v_fma_f64 v[57:58], v[7:8], v[188:189], v[1:2]
	s_waitcnt vmcnt(0) lgkmcnt(0)
	v_mul_f64 v[1:2], v[11:12], v[182:183]
	v_fma_f64 v[61:62], v[9:10], v[180:181], -v[1:2]
	v_mul_f64 v[1:2], v[9:10], v[182:183]
	v_fma_f64 v[59:60], v[11:12], v[180:181], v[1:2]
	v_mul_u32_u24_sdwa v1, v26, v19 dst_sel:DWORD dst_unused:UNUSED_PAD src0_sel:WORD_0 src1_sel:DWORD
	v_lshrrev_b32_e32 v88, 22, v1
	v_mul_lo_u16 v1, 0x60, v88
	v_sub_nc_u16 v89, v26, v1
	v_lshlrev_b16 v1, 5, v89
	v_and_b32_e32 v1, 0xffff, v1
	v_add_co_u32 v1, s6, s14, v1
	v_add_co_ci_u32_e64 v2, null, s15, 0, s6
	s_clause 0x1
	global_load_dwordx4 v[192:195], v[1:2], off offset:1504
	global_load_dwordx4 v[196:199], v[1:2], off offset:1520
	ds_read_b128 v[1:4], v92 offset:17920
	ds_read_b128 v[5:8], v92 offset:19712
	s_waitcnt vmcnt(1) lgkmcnt(1)
	v_mul_f64 v[9:10], v[3:4], v[194:195]
	v_fma_f64 v[73:74], v[1:2], v[192:193], -v[9:10]
	v_mul_f64 v[1:2], v[1:2], v[194:195]
	v_fma_f64 v[69:70], v[3:4], v[192:193], v[1:2]
	ds_read_b128 v[1:4], v92 offset:28672
	ds_read_b128 v[9:12], v92 offset:30464
	s_waitcnt vmcnt(0) lgkmcnt(1)
	v_mul_f64 v[22:23], v[3:4], v[198:199]
	v_fma_f64 v[75:76], v[1:2], v[196:197], -v[22:23]
	v_mul_f64 v[1:2], v[1:2], v[198:199]
	v_add_f64 v[22:23], v[15:16], v[17:18]
	v_fma_f64 v[71:72], v[3:4], v[196:197], v[1:2]
	v_mul_u32_u24_sdwa v1, v25, v19 dst_sel:DWORD dst_unused:UNUSED_PAD src0_sel:WORD_0 src1_sel:DWORD
	v_lshrrev_b32_e32 v90, 22, v1
	v_mul_lo_u16 v1, 0x60, v90
	v_sub_nc_u16 v91, v25, v1
	v_lshlrev_b16 v1, 5, v91
	v_and_b32_e32 v1, 0xffff, v1
	v_add_co_u32 v1, s6, s14, v1
	v_add_co_ci_u32_e64 v2, null, s15, 0, s6
	s_clause 0x1
	global_load_dwordx4 v[204:207], v[1:2], off offset:1504
	global_load_dwordx4 v[176:179], v[1:2], off offset:1520
	s_waitcnt vmcnt(1)
	v_mul_f64 v[1:2], v[7:8], v[206:207]
	v_fma_f64 v[77:78], v[5:6], v[204:205], -v[1:2]
	v_mul_f64 v[1:2], v[5:6], v[206:207]
	v_fma_f64 v[79:80], v[7:8], v[204:205], v[1:2]
	s_waitcnt vmcnt(0) lgkmcnt(0)
	v_mul_f64 v[1:2], v[11:12], v[178:179]
	v_fma_f64 v[81:82], v[9:10], v[176:177], -v[1:2]
	v_mul_f64 v[1:2], v[9:10], v[178:179]
	v_fma_f64 v[9:10], v[11:12], v[176:177], v[1:2]
	v_add_f64 v[11:12], v[13:14], v[20:21]
	ds_read_b128 v[1:4], v92
	ds_read_b128 v[5:8], v92 offset:1792
	s_waitcnt lgkmcnt(1)
	v_fma_f64 v[27:28], v[22:23], -0.5, v[3:4]
	v_add_f64 v[3:4], v[3:4], v[15:16]
	v_fma_f64 v[11:12], v[11:12], -0.5, v[1:2]
	v_add_f64 v[1:2], v[1:2], v[13:14]
	v_add_f64 v[22:23], v[15:16], -v[17:18]
	v_add_f64 v[18:19], v[3:4], v[17:18]
	v_add_f64 v[3:4], v[29:30], v[31:32]
	;; [unrolled: 1-line block ×3, first 2 shown]
	v_add_f64 v[1:2], v[13:14], -v[20:21]
	v_fma_f64 v[20:21], v[22:23], s[0:1], v[11:12]
	v_fma_f64 v[25:26], v[22:23], s[2:3], v[11:12]
	v_add_f64 v[11:12], v[29:30], -v[31:32]
	v_add_f64 v[13:14], v[41:42], v[43:44]
	s_waitcnt lgkmcnt(0)
	v_fma_f64 v[3:4], v[3:4], -0.5, v[7:8]
	v_add_f64 v[7:8], v[7:8], v[29:30]
	v_fma_f64 v[22:23], v[1:2], s[2:3], v[27:28]
	v_fma_f64 v[27:28], v[1:2], s[0:1], v[27:28]
	v_add_f64 v[1:2], v[33:34], v[35:36]
	v_add_f64 v[31:32], v[7:8], v[31:32]
	v_fma_f64 v[1:2], v[1:2], -0.5, v[5:6]
	v_add_f64 v[5:6], v[5:6], v[33:34]
	v_fma_f64 v[37:38], v[11:12], s[2:3], v[1:2]
	v_add_f64 v[29:30], v[5:6], v[35:36]
	v_add_f64 v[5:6], v[33:34], -v[35:36]
	v_fma_f64 v[33:34], v[11:12], s[0:1], v[1:2]
	v_add_f64 v[11:12], v[45:46], v[47:48]
	v_fma_f64 v[35:36], v[5:6], s[2:3], v[3:4]
	v_fma_f64 v[39:40], v[5:6], s[0:1], v[3:4]
	ds_read_b128 v[1:4], v92 offset:3584
	ds_read_b128 v[5:8], v92 offset:5376
	s_waitcnt lgkmcnt(1)
	v_fma_f64 v[11:12], v[11:12], -0.5, v[1:2]
	v_add_f64 v[1:2], v[1:2], v[45:46]
	v_fma_f64 v[13:14], v[13:14], -0.5, v[3:4]
	v_add_f64 v[3:4], v[3:4], v[41:42]
	v_add_f64 v[41:42], v[1:2], v[47:48]
	v_add_f64 v[1:2], v[45:46], -v[47:48]
	v_add_f64 v[43:44], v[3:4], v[43:44]
	v_add_f64 v[3:4], v[57:58], v[59:60]
	v_fma_f64 v[45:46], v[49:50], s[0:1], v[11:12]
	v_fma_f64 v[49:50], v[49:50], s[2:3], v[11:12]
	v_add_f64 v[11:12], v[57:58], -v[59:60]
	v_fma_f64 v[47:48], v[1:2], s[2:3], v[13:14]
	v_fma_f64 v[51:52], v[1:2], s[0:1], v[13:14]
	v_add_f64 v[1:2], v[53:54], v[61:62]
	s_waitcnt lgkmcnt(0)
	v_fma_f64 v[3:4], v[3:4], -0.5, v[7:8]
	v_add_f64 v[7:8], v[7:8], v[57:58]
	v_add_f64 v[13:14], v[69:70], v[71:72]
	v_fma_f64 v[1:2], v[1:2], -0.5, v[5:6]
	v_add_f64 v[5:6], v[5:6], v[53:54]
	v_add_f64 v[59:60], v[7:8], v[59:60]
	v_fma_f64 v[65:66], v[11:12], s[2:3], v[1:2]
	v_add_f64 v[57:58], v[5:6], v[61:62]
	v_add_f64 v[5:6], v[53:54], -v[61:62]
	v_fma_f64 v[61:62], v[11:12], s[0:1], v[1:2]
	v_add_f64 v[11:12], v[73:74], v[75:76]
	v_add_f64 v[53:54], v[69:70], -v[71:72]
	v_fma_f64 v[63:64], v[5:6], s[2:3], v[3:4]
	v_fma_f64 v[67:68], v[5:6], s[0:1], v[3:4]
	ds_read_b128 v[1:4], v92 offset:7168
	ds_read_b128 v[5:8], v92 offset:8960
	s_waitcnt lgkmcnt(0)
	s_barrier
	buffer_gl0_inv
	v_fma_f64 v[11:12], v[11:12], -0.5, v[1:2]
	v_add_f64 v[1:2], v[1:2], v[73:74]
	v_fma_f64 v[13:14], v[13:14], -0.5, v[3:4]
	v_add_f64 v[3:4], v[3:4], v[69:70]
	v_fma_f64 v[236:237], v[53:54], s[2:3], v[11:12]
	v_add_f64 v[69:70], v[1:2], v[75:76]
	v_add_f64 v[1:2], v[73:74], -v[75:76]
	v_add_f64 v[71:72], v[3:4], v[71:72]
	v_add_f64 v[3:4], v[79:80], v[9:10]
	v_fma_f64 v[73:74], v[53:54], s[0:1], v[11:12]
	v_add_f64 v[11:12], v[5:6], v[77:78]
	v_add_f64 v[53:54], v[79:80], -v[9:10]
	v_fma_f64 v[75:76], v[1:2], s[2:3], v[13:14]
	v_fma_f64 v[238:239], v[1:2], s[0:1], v[13:14]
	v_add_f64 v[1:2], v[77:78], v[81:82]
	v_fma_f64 v[14:15], v[3:4], -0.5, v[7:8]
	v_add_f64 v[3:4], v[7:8], v[79:80]
	v_add_f64 v[77:78], v[77:78], -v[81:82]
	v_fma_f64 v[1:2], v[1:2], -0.5, v[5:6]
	v_add_f64 v[6:7], v[3:4], v[9:10]
	v_add_f64 v[4:5], v[11:12], v[81:82]
	v_fma_f64 v[10:11], v[77:78], s[2:3], v[14:15]
	v_fma_f64 v[14:15], v[77:78], s[0:1], v[14:15]
	;; [unrolled: 1-line block ×4, first 2 shown]
	v_cndmask_b32_e64 v1, 0, 0x120, vcc_lo
	s_load_dwordx2 s[2:3], s[4:5], 0x38
	v_cmp_gt_u16_e32 vcc_lo, 64, v24
	v_add_nc_u32_e32 v0, v0, v1
	v_lshl_add_u32 v113, v0, 4, v93
	v_mov_b32_e32 v0, 0x120
	ds_write_b128 v113, v[16:19]
	ds_write_b128 v113, v[20:23] offset:1536
	ds_write_b128 v113, v[25:28] offset:3072
	v_mul_u32_u24_sdwa v0, v55, v0 dst_sel:DWORD dst_unused:UNUSED_PAD src0_sel:WORD_0 src1_sel:DWORD
                                        ; implicit-def: $vgpr24_vgpr25
                                        ; implicit-def: $vgpr16_vgpr17
                                        ; implicit-def: $vgpr20_vgpr21
	v_add_nc_u32_sdwa v0, v0, v83 dst_sel:DWORD dst_unused:UNUSED_PAD src0_sel:DWORD src1_sel:BYTE_0
	v_lshl_add_u32 v114, v0, 4, v93
	v_mad_u16 v0, 0x120, v84, v85
	ds_write_b128 v114, v[29:32]
	ds_write_b128 v114, v[33:36] offset:1536
	ds_write_b128 v114, v[37:40] offset:3072
	v_and_b32_e32 v0, 0xffff, v0
	v_lshl_add_u32 v115, v0, 4, v93
	v_mad_u16 v0, 0x120, v86, v87
	ds_write_b128 v115, v[41:44]
	ds_write_b128 v115, v[45:48] offset:1536
	ds_write_b128 v115, v[49:52] offset:3072
	v_and_b32_e32 v0, 0xffff, v0
	v_lshl_add_u32 v0, v0, 4, v93
	ds_write_b128 v0, v[57:60]
	ds_write_b128 v0, v[61:64] offset:1536
	buffer_store_dword v0, off, s[28:31], 0 offset:336 ; 4-byte Folded Spill
	ds_write_b128 v0, v[65:68] offset:3072
	v_mad_u16 v0, 0x120, v88, v89
	v_and_b32_e32 v0, 0xffff, v0
	v_lshl_add_u32 v2, v0, 4, v93
	v_mad_u16 v0, 0x120, v90, v91
	ds_write_b128 v2, v[69:72]
	ds_write_b128 v2, v[73:76] offset:1536
	v_and_b32_e32 v0, 0xffff, v0
	buffer_store_dword v2, off, s[28:31], 0 offset:340 ; 4-byte Folded Spill
	v_lshl_add_u32 v3, v0, 4, v93
	ds_write_b128 v2, v[236:239] offset:3072
	ds_write_b128 v3, v[4:7]
	ds_write_b128 v3, v[8:11] offset:1536
	buffer_store_dword v3, off, s[28:31], 0 offset:344 ; 4-byte Folded Spill
	ds_write_b128 v3, v[12:15] offset:3072
	s_waitcnt lgkmcnt(0)
	s_waitcnt_vscnt null, 0x0
	s_barrier
	buffer_gl0_inv
	ds_read_b128 v[0:3], v92
	ds_read_b128 v[240:243], v92 offset:1792
	ds_read_b128 v[96:99], v92 offset:4608
	;; [unrolled: 1-line block ×13, first 2 shown]
	s_and_saveexec_b32 s0, vcc_lo
	s_cbranch_execz .LBB0_3
; %bb.2:
	ds_read_b128 v[236:239], v92 offset:3584
	ds_read_b128 v[4:7], v92 offset:8192
	;; [unrolled: 1-line block ×7, first 2 shown]
.LBB0_3:
	s_or_b32 exec_lo, exec_lo, s0
	v_mad_u64_u32 v[57:58], null, 0x60, v112, s[14:15]
	s_mov_b32 s6, 0x37e14327
	s_mov_b32 s4, 0x36b3c0b5
	;; [unrolled: 1-line block ×6, first 2 shown]
	v_add_co_u32 v52, s0, 0x11e0, v57
	v_add_co_ci_u32_e64 v53, s0, 0, v58, s0
	v_add_co_u32 v54, s0, 0x1000, v57
	v_add_co_ci_u32_e64 v55, s0, 0, v58, s0
	s_mov_b32 s24, 0xb247c609
	s_mov_b32 s17, 0xbff2aaaa
	s_clause 0x3
	global_load_dwordx4 v[104:107], v[54:55], off offset:480
	global_load_dwordx4 v[59:62], v[52:53], off offset:48
	;; [unrolled: 1-line block ×4, first 2 shown]
	s_mov_b32 s19, 0x3fe77f67
	s_mov_b32 s21, 0xbfe77f67
	;; [unrolled: 1-line block ×8, first 2 shown]
	v_lshl_add_u32 v93, v112, 4, v93
	s_waitcnt vmcnt(3) lgkmcnt(11)
	v_mul_f64 v[52:53], v[98:99], v[106:107]
	v_fma_f64 v[248:249], v[96:97], v[104:105], -v[52:53]
	v_mul_f64 v[52:53], v[96:97], v[106:107]
	v_fma_f64 v[250:251], v[98:99], v[104:105], v[52:53]
	s_waitcnt vmcnt(0) lgkmcnt(9)
	v_mul_f64 v[52:53], v[90:91], v[110:111]
	v_fma_f64 v[252:253], v[88:89], v[108:109], -v[52:53]
	v_mul_f64 v[52:53], v[88:89], v[110:111]
	v_fma_f64 v[254:255], v[90:91], v[108:109], v[52:53]
	s_waitcnt lgkmcnt(7)
	v_mul_f64 v[52:53], v[86:87], v[65:66]
	v_fma_f64 v[94:95], v[84:85], v[63:64], -v[52:53]
	v_mul_f64 v[52:53], v[84:85], v[65:66]
	buffer_store_dword v63, off, s[28:31], 0 offset:320 ; 4-byte Folded Spill
	buffer_store_dword v64, off, s[28:31], 0 offset:324 ; 4-byte Folded Spill
	;; [unrolled: 1-line block ×4, first 2 shown]
	v_fma_f64 v[84:85], v[86:87], v[63:64], v[52:53]
	s_waitcnt lgkmcnt(5)
	v_mul_f64 v[52:53], v[82:83], v[61:62]
	v_fma_f64 v[86:87], v[80:81], v[59:60], -v[52:53]
	v_mul_f64 v[52:53], v[80:81], v[61:62]
	buffer_store_dword v59, off, s[28:31], 0 offset:304 ; 4-byte Folded Spill
	buffer_store_dword v60, off, s[28:31], 0 offset:308 ; 4-byte Folded Spill
	;; [unrolled: 1-line block ×4, first 2 shown]
	v_fma_f64 v[80:81], v[82:83], v[59:60], v[52:53]
	v_add_co_u32 v52, s0, 0x1220, v57
	v_add_co_ci_u32_e64 v53, s0, 0, v58, s0
	s_clause 0x1
	global_load_dwordx4 v[136:139], v[54:55], off offset:544
	global_load_dwordx4 v[140:143], v[52:53], off offset:16
	s_waitcnt vmcnt(1) lgkmcnt(3)
	v_mul_f64 v[52:53], v[78:79], v[138:139]
	v_fma_f64 v[82:83], v[76:77], v[136:137], -v[52:53]
	v_mul_f64 v[52:53], v[76:77], v[138:139]
	v_fma_f64 v[76:77], v[78:79], v[136:137], v[52:53]
	s_waitcnt vmcnt(0) lgkmcnt(1)
	v_mul_f64 v[52:53], v[74:75], v[142:143]
	v_fma_f64 v[78:79], v[72:73], v[140:141], -v[52:53]
	v_mul_f64 v[52:53], v[72:73], v[142:143]
	v_fma_f64 v[74:75], v[74:75], v[140:141], v[52:53]
	v_add_co_u32 v52, s0, 0x3be0, v57
	v_add_co_ci_u32_e64 v53, s0, 0, v58, s0
	v_add_co_u32 v59, s0, 0x3800, v57
	v_add_co_ci_u32_e64 v60, s0, 0, v58, s0
	s_clause 0x3
	global_load_dwordx4 v[88:91], v[59:60], off offset:992
	global_load_dwordx4 v[116:119], v[52:53], off offset:48
	;; [unrolled: 1-line block ×4, first 2 shown]
	s_waitcnt vmcnt(3)
	v_mul_f64 v[52:53], v[50:51], v[90:91]
	v_fma_f64 v[54:55], v[48:49], v[88:89], -v[52:53]
	v_mul_f64 v[48:49], v[48:49], v[90:91]
	v_fma_f64 v[72:73], v[50:51], v[88:89], v[48:49]
	s_waitcnt vmcnt(0)
	v_mul_f64 v[48:49], v[46:47], v[126:127]
	v_fma_f64 v[52:53], v[44:45], v[124:125], -v[48:49]
	v_mul_f64 v[44:45], v[44:45], v[126:127]
	v_fma_f64 v[46:47], v[46:47], v[124:125], v[44:45]
	v_mul_f64 v[44:45], v[42:43], v[122:123]
	v_fma_f64 v[44:45], v[40:41], v[120:121], -v[44:45]
	v_mul_f64 v[40:41], v[40:41], v[122:123]
	v_fma_f64 v[40:41], v[42:43], v[120:121], v[40:41]
	;; [unrolled: 4-line block ×3, first 2 shown]
	v_add_co_u32 v38, s0, 0x3c20, v57
	v_add_co_ci_u32_e64 v39, s0, 0, v58, s0
	s_clause 0x1
	global_load_dwordx4 v[148:151], v[59:60], off offset:1056
	global_load_dwordx4 v[152:155], v[38:39], off offset:16
	s_waitcnt vmcnt(1)
	v_mul_f64 v[38:39], v[34:35], v[150:151]
	v_fma_f64 v[38:39], v[32:33], v[148:149], -v[38:39]
	v_mul_f64 v[32:33], v[32:33], v[150:151]
	v_fma_f64 v[32:33], v[34:35], v[148:149], v[32:33]
	s_waitcnt vmcnt(0) lgkmcnt(0)
	v_mul_f64 v[34:35], v[30:31], v[154:155]
	v_fma_f64 v[34:35], v[28:29], v[152:153], -v[34:35]
	v_mul_f64 v[28:29], v[28:29], v[154:155]
	v_fma_f64 v[28:29], v[30:31], v[152:153], v[28:29]
	v_subrev_nc_u32_e32 v30, 64, v112
	v_cndmask_b32_e32 v30, v30, v56, vcc_lo
	v_mul_hi_i32_i24_e32 v31, 0x60, v30
	v_mul_i32_i24_e32 v30, 0x60, v30
	v_add_co_u32 v66, s0, s14, v30
	v_add_co_ci_u32_e64 v67, s0, s15, v31, s0
	s_mov_b32 s14, 0xe976ee23
	v_add_co_u32 v30, s0, 0x11e0, v66
	v_add_co_ci_u32_e64 v31, s0, 0, v67, s0
	v_add_co_u32 v64, s0, 0x1000, v66
	v_add_co_ci_u32_e64 v65, s0, 0, v67, s0
	s_clause 0x3
	global_load_dwordx4 v[48:51], v[64:65], off offset:480
	global_load_dwordx4 v[68:71], v[30:31], off offset:48
	;; [unrolled: 1-line block ×4, first 2 shown]
	s_mov_b32 s15, 0xbfe11646
	s_waitcnt vmcnt(3)
	v_mul_f64 v[30:31], v[6:7], v[50:51]
	v_fma_f64 v[58:59], v[4:5], v[48:49], -v[30:31]
	v_mul_f64 v[4:5], v[4:5], v[50:51]
	buffer_store_dword v48, off, s[28:31], 0 offset:608 ; 4-byte Folded Spill
	buffer_store_dword v49, off, s[28:31], 0 offset:612 ; 4-byte Folded Spill
	;; [unrolled: 1-line block ×4, first 2 shown]
	v_fma_f64 v[62:63], v[6:7], v[48:49], v[4:5]
	s_waitcnt vmcnt(0)
	v_mul_f64 v[4:5], v[10:11], v[102:103]
	v_fma_f64 v[244:245], v[8:9], v[100:101], -v[4:5]
	v_mul_f64 v[4:5], v[8:9], v[102:103]
	buffer_store_dword v100, off, s[28:31], 0 offset:624 ; 4-byte Folded Spill
	buffer_store_dword v101, off, s[28:31], 0 offset:628 ; 4-byte Folded Spill
	;; [unrolled: 1-line block ×4, first 2 shown]
	v_fma_f64 v[246:247], v[10:11], v[100:101], v[4:5]
	v_mul_f64 v[4:5], v[14:15], v[98:99]
	v_add_f64 v[10:11], v[250:251], -v[74:75]
	v_fma_f64 v[48:49], v[12:13], v[96:97], -v[4:5]
	v_mul_f64 v[4:5], v[12:13], v[98:99]
	buffer_store_dword v96, off, s[28:31], 0 offset:592 ; 4-byte Folded Spill
	buffer_store_dword v97, off, s[28:31], 0 offset:596 ; 4-byte Folded Spill
	;; [unrolled: 1-line block ×4, first 2 shown]
	v_add_f64 v[12:13], v[252:253], v[82:83]
	v_fma_f64 v[50:51], v[14:15], v[96:97], v[4:5]
	v_mul_f64 v[4:5], v[26:27], v[70:71]
	v_add_f64 v[14:15], v[254:255], v[76:77]
	v_fma_f64 v[56:57], v[24:25], v[68:69], -v[4:5]
	v_mul_f64 v[4:5], v[24:25], v[70:71]
	buffer_store_dword v68, off, s[28:31], 0 offset:576 ; 4-byte Folded Spill
	buffer_store_dword v69, off, s[28:31], 0 offset:580 ; 4-byte Folded Spill
	;; [unrolled: 1-line block ×4, first 2 shown]
	v_add_f64 v[24:25], v[86:87], -v[94:95]
	v_fma_f64 v[60:61], v[26:27], v[68:69], v[4:5]
	v_add_co_u32 v4, s0, 0x1220, v66
	v_add_co_ci_u32_e64 v5, s0, 0, v67, s0
	s_clause 0x1
	global_load_dwordx4 v[6:9], v[64:65], off offset:544
	global_load_dwordx4 v[96:99], v[4:5], off offset:16
	v_add_f64 v[26:27], v[80:81], -v[84:85]
	s_mov_b32 s0, 0x429ad128
	s_mov_b32 s1, 0x3febfeb5
	s_waitcnt vmcnt(1)
	v_mul_f64 v[4:5], v[18:19], v[8:9]
	v_fma_f64 v[64:65], v[16:17], v[6:7], -v[4:5]
	v_mul_f64 v[4:5], v[16:17], v[8:9]
	buffer_store_dword v6, off, s[28:31], 0 offset:640 ; 4-byte Folded Spill
	buffer_store_dword v7, off, s[28:31], 0 offset:644 ; 4-byte Folded Spill
	;; [unrolled: 1-line block ×4, first 2 shown]
	v_add_f64 v[8:9], v[248:249], -v[78:79]
	v_add_f64 v[16:17], v[252:253], -v[82:83]
	v_fma_f64 v[66:67], v[18:19], v[6:7], v[4:5]
	s_waitcnt vmcnt(0)
	v_mul_f64 v[4:5], v[22:23], v[98:99]
	v_add_f64 v[6:7], v[250:251], v[74:75]
	v_add_f64 v[18:19], v[254:255], -v[76:77]
	v_fma_f64 v[68:69], v[20:21], v[96:97], -v[4:5]
	v_mul_f64 v[4:5], v[20:21], v[98:99]
	v_add_f64 v[20:21], v[94:95], v[86:87]
	v_add_f64 v[74:75], v[14:15], v[6:7]
	;; [unrolled: 1-line block ×3, first 2 shown]
	v_add_f64 v[86:87], v[26:27], -v[18:19]
	v_add_f64 v[94:95], v[16:17], -v[8:9]
	;; [unrolled: 1-line block ×3, first 2 shown]
	v_fma_f64 v[70:71], v[22:23], v[96:97], v[4:5]
	v_add_f64 v[4:5], v[248:249], v[78:79]
	v_add_f64 v[22:23], v[84:85], v[80:81]
	v_add_f64 v[78:79], v[14:15], -v[6:7]
	v_add_f64 v[80:81], v[24:25], v[16:17]
	v_add_f64 v[84:85], v[24:25], -v[16:17]
	v_add_f64 v[248:249], v[18:19], -v[10:11]
	;; [unrolled: 1-line block ×3, first 2 shown]
	v_add_f64 v[10:11], v[82:83], v[10:11]
	v_add_f64 v[30:31], v[12:13], v[4:5]
	v_add_f64 v[76:77], v[12:13], -v[4:5]
	v_add_f64 v[4:5], v[4:5], -v[20:21]
	v_add_f64 v[6:7], v[6:7], -v[22:23]
	v_add_f64 v[12:13], v[20:21], -v[12:13]
	v_add_f64 v[14:15], v[22:23], -v[14:15]
	v_add_f64 v[22:23], v[22:23], v[74:75]
	v_add_f64 v[8:9], v[80:81], v[8:9]
	v_mul_f64 v[74:75], v[86:87], s[14:15]
	v_mul_f64 v[80:81], v[94:95], s[0:1]
	;; [unrolled: 1-line block ×3, first 2 shown]
	v_add_f64 v[20:21], v[20:21], v[30:31]
	v_mul_f64 v[30:31], v[84:85], s[14:15]
	v_add_f64 v[18:19], v[2:3], v[22:23]
	v_mul_f64 v[2:3], v[6:7], s[6:7]
	v_mul_f64 v[6:7], v[14:15], s[4:5]
	v_add_f64 v[16:17], v[0:1], v[20:21]
	v_mul_f64 v[0:1], v[4:5], s[6:7]
	v_mul_f64 v[4:5], v[12:13], s[4:5]
	v_fma_f64 v[22:23], v[22:23], s[16:17], v[18:19]
	v_fma_f64 v[14:15], v[14:15], s[4:5], v[2:3]
	v_fma_f64 v[6:7], v[78:79], s[18:19], -v[6:7]
	v_fma_f64 v[2:3], v[78:79], s[20:21], -v[2:3]
	v_fma_f64 v[78:79], v[26:27], s[24:25], v[74:75]
	v_fma_f64 v[26:27], v[26:27], s[26:27], -v[82:83]
	v_fma_f64 v[74:75], v[248:249], s[0:1], -v[74:75]
	v_fma_f64 v[20:21], v[20:21], s[16:17], v[16:17]
	v_fma_f64 v[12:13], v[12:13], s[4:5], v[0:1]
	v_fma_f64 v[4:5], v[76:77], s[18:19], -v[4:5]
	v_fma_f64 v[0:1], v[76:77], s[20:21], -v[0:1]
	v_fma_f64 v[76:77], v[24:25], s[24:25], v[30:31]
	v_fma_f64 v[24:25], v[24:25], s[26:27], -v[80:81]
	v_fma_f64 v[30:31], v[94:95], s[0:1], -v[30:31]
	v_add_f64 v[82:83], v[14:15], v[22:23]
	v_add_f64 v[86:87], v[6:7], v[22:23]
	v_add_f64 v[22:23], v[2:3], v[22:23]
	v_fma_f64 v[78:79], v[10:11], s[22:23], v[78:79]
	v_fma_f64 v[26:27], v[10:11], s[22:23], v[26:27]
	ds_write_b128 v92, v[16:19]
	v_mov_b32_e32 v16, v112
	v_add_f64 v[80:81], v[12:13], v[20:21]
	v_add_f64 v[84:85], v[4:5], v[20:21]
	;; [unrolled: 1-line block ×3, first 2 shown]
	v_fma_f64 v[76:77], v[8:9], s[22:23], v[76:77]
	v_fma_f64 v[24:25], v[8:9], s[22:23], v[24:25]
	;; [unrolled: 1-line block ×4, first 2 shown]
	v_add_f64 v[30:31], v[46:47], v[32:33]
	v_add_f64 v[32:33], v[46:47], -v[32:33]
	v_add_f64 v[46:47], v[40:41], v[36:37]
	v_add_f64 v[36:37], v[36:37], -v[40:41]
	v_add_f64 v[12:13], v[78:79], v[80:81]
	v_add_f64 v[248:249], v[80:81], -v[78:79]
	v_add_f64 v[8:9], v[26:27], v[20:21]
	v_add_f64 v[252:253], v[20:21], -v[26:27]
	v_add_f64 v[10:11], v[22:23], -v[24:25]
	v_add_f64 v[254:255], v[24:25], v[22:23]
	v_add_f64 v[20:21], v[54:55], v[34:35]
	;; [unrolled: 1-line block ×3, first 2 shown]
	v_add_f64 v[26:27], v[72:73], -v[28:29]
	v_add_f64 v[28:29], v[52:53], v[38:39]
	v_add_f64 v[24:25], v[54:55], -v[34:35]
	v_add_f64 v[34:35], v[52:53], -v[38:39]
	v_add_f64 v[38:39], v[44:45], v[42:43]
	v_add_f64 v[42:43], v[42:43], -v[44:45]
	v_add_f64 v[14:15], v[82:83], -v[76:77]
	v_add_f64 v[250:251], v[76:77], v[82:83]
	v_add_f64 v[74:75], v[36:37], v[32:33]
	v_add_f64 v[78:79], v[36:37], -v[32:33]
	v_add_f64 v[4:5], v[84:85], -v[0:1]
	v_add_f64 v[6:7], v[2:3], v[86:87]
	v_add_f64 v[0:1], v[0:1], v[84:85]
	v_add_f64 v[2:3], v[86:87], -v[2:3]
	v_add_f64 v[44:45], v[30:31], v[22:23]
	v_add_f64 v[54:55], v[30:31], -v[22:23]
	;; [unrolled: 2-line block ×3, first 2 shown]
	v_add_f64 v[22:23], v[22:23], -v[46:47]
	v_add_f64 v[20:21], v[20:21], -v[38:39]
	v_add_f64 v[28:29], v[38:39], -v[28:29]
	v_add_f64 v[30:31], v[46:47], -v[30:31]
	v_add_f64 v[72:73], v[42:43], v[34:35]
	v_add_f64 v[76:77], v[42:43], -v[34:35]
	v_add_f64 v[34:35], v[34:35], -v[24:25]
	;; [unrolled: 1-line block ×5, first 2 shown]
	v_add_f64 v[26:27], v[74:75], v[26:27]
	v_add_f64 v[44:45], v[46:47], v[44:45]
	;; [unrolled: 1-line block ×3, first 2 shown]
	v_mul_f64 v[22:23], v[22:23], s[6:7]
	v_mul_f64 v[20:21], v[20:21], s[6:7]
	;; [unrolled: 1-line block ×3, first 2 shown]
	v_add_f64 v[24:25], v[72:73], v[24:25]
	v_mul_f64 v[72:73], v[30:31], s[4:5]
	v_mul_f64 v[74:75], v[76:77], s[14:15]
	;; [unrolled: 1-line block ×5, first 2 shown]
	v_add_f64 v[42:43], v[242:243], v[44:45]
	v_add_f64 v[40:41], v[240:241], v[38:39]
	v_fma_f64 v[30:31], v[30:31], s[4:5], v[22:23]
	v_fma_f64 v[28:29], v[28:29], s[4:5], v[20:21]
	v_fma_f64 v[46:47], v[52:53], s[18:19], -v[46:47]
	v_fma_f64 v[20:21], v[52:53], s[20:21], -v[20:21]
	;; [unrolled: 1-line block ×4, first 2 shown]
	v_fma_f64 v[52:53], v[80:81], s[24:25], v[74:75]
	v_fma_f64 v[54:55], v[36:37], s[24:25], v[76:77]
	v_fma_f64 v[34:35], v[34:35], s[0:1], -v[74:75]
	v_fma_f64 v[74:75], v[80:81], s[26:27], -v[78:79]
	;; [unrolled: 1-line block ×4, first 2 shown]
	v_fma_f64 v[44:45], v[44:45], s[16:17], v[42:43]
	v_fma_f64 v[38:39], v[38:39], s[16:17], v[40:41]
	;; [unrolled: 1-line block ×6, first 2 shown]
	v_add_f64 v[78:79], v[30:31], v[44:45]
	v_add_f64 v[30:31], v[72:73], v[44:45]
	;; [unrolled: 1-line block ×5, first 2 shown]
	v_fma_f64 v[72:73], v[24:25], s[22:23], v[34:35]
	v_fma_f64 v[24:25], v[26:27], s[22:23], v[36:37]
	v_add_f64 v[28:29], v[46:47], v[38:39]
	v_add_f64 v[46:47], v[78:79], -v[52:53]
	v_add_f64 v[44:45], v[54:55], v[76:77]
	v_add_f64 v[38:39], v[22:23], -v[74:75]
	v_add_f64 v[26:27], v[74:75], v[22:23]
	v_add_f64 v[36:37], v[24:25], v[20:21]
	v_add_f64 v[24:25], v[20:21], -v[24:25]
	v_add_f64 v[20:21], v[76:77], -v[54:55]
	v_add_f64 v[22:23], v[52:53], v[78:79]
	v_add_f64 v[52:53], v[58:59], v[68:69]
	;; [unrolled: 1-line block ×3, first 2 shown]
	v_add_f64 v[58:59], v[58:59], -v[68:69]
	v_add_f64 v[62:63], v[62:63], -v[70:71]
	v_add_f64 v[68:69], v[244:245], v[64:65]
	v_add_f64 v[70:71], v[246:247], v[66:67]
	;; [unrolled: 1-line block ×3, first 2 shown]
	v_add_f64 v[30:31], v[30:31], -v[72:73]
	v_add_f64 v[64:65], v[244:245], -v[64:65]
	;; [unrolled: 1-line block ×3, first 2 shown]
	v_add_f64 v[72:73], v[48:49], v[56:57]
	v_add_f64 v[74:75], v[50:51], v[60:61]
	v_add_f64 v[48:49], v[56:57], -v[48:49]
	v_add_f64 v[50:51], v[60:61], -v[50:51]
	;; [unrolled: 1-line block ×3, first 2 shown]
	v_add_f64 v[28:29], v[80:81], v[28:29]
	ds_write_b128 v93, v[12:15] offset:4608
	ds_write_b128 v93, v[8:11] offset:9216
	;; [unrolled: 1-line block ×13, first 2 shown]
	v_add_f64 v[56:57], v[68:69], v[52:53]
	v_add_f64 v[60:61], v[70:71], v[54:55]
	v_add_f64 v[76:77], v[68:69], -v[52:53]
	v_add_f64 v[78:79], v[70:71], -v[54:55]
	;; [unrolled: 1-line block ×6, first 2 shown]
	v_add_f64 v[80:81], v[48:49], v[64:65]
	v_add_f64 v[82:83], v[50:51], v[66:67]
	v_add_f64 v[84:85], v[48:49], -v[64:65]
	v_add_f64 v[86:87], v[50:51], -v[66:67]
	;; [unrolled: 1-line block ×6, first 2 shown]
	v_add_f64 v[56:57], v[72:73], v[56:57]
	v_add_f64 v[60:61], v[74:75], v[60:61]
	v_mul_f64 v[52:53], v[52:53], s[6:7]
	v_mul_f64 v[54:55], v[54:55], s[6:7]
	v_add_f64 v[72:73], v[80:81], v[58:59]
	v_add_f64 v[80:81], v[82:83], v[62:63]
	v_mul_f64 v[58:59], v[68:69], s[4:5]
	v_mul_f64 v[62:63], v[70:71], s[4:5]
	;; [unrolled: 1-line block ×6, first 2 shown]
	v_add_f64 v[48:49], v[236:237], v[56:57]
	v_add_f64 v[50:51], v[238:239], v[60:61]
	v_fma_f64 v[68:69], v[68:69], s[4:5], v[52:53]
	v_fma_f64 v[70:71], v[70:71], s[4:5], v[54:55]
	v_fma_f64 v[236:237], v[76:77], s[18:19], -v[58:59]
	v_fma_f64 v[62:63], v[78:79], s[18:19], -v[62:63]
	;; [unrolled: 1-line block ×4, first 2 shown]
	v_fma_f64 v[238:239], v[94:95], s[24:25], v[74:75]
	v_fma_f64 v[242:243], v[240:241], s[24:25], v[82:83]
	v_fma_f64 v[74:75], v[64:65], s[0:1], -v[74:75]
	v_fma_f64 v[66:67], v[66:67], s[0:1], -v[82:83]
	;; [unrolled: 1-line block ×4, first 2 shown]
	v_fma_f64 v[56:57], v[56:57], s[16:17], v[48:49]
	v_fma_f64 v[60:61], v[60:61], s[16:17], v[50:51]
	v_fma_f64 v[64:65], v[72:73], s[22:23], v[238:239]
	v_fma_f64 v[74:75], v[72:73], s[22:23], v[74:75]
	v_fma_f64 v[72:73], v[72:73], s[22:23], v[82:83]
	v_add_f64 v[52:53], v[68:69], v[56:57]
	v_add_f64 v[58:59], v[70:71], v[60:61]
	v_add_f64 v[54:55], v[236:237], v[56:57]
	v_add_f64 v[70:71], v[62:63], v[60:61]
	v_add_f64 v[56:57], v[76:77], v[56:57]
	v_add_f64 v[68:69], v[78:79], v[60:61]
	v_fma_f64 v[60:61], v[80:81], s[22:23], v[242:243]
	v_fma_f64 v[62:63], v[80:81], s[22:23], v[66:67]
	v_fma_f64 v[66:67], v[80:81], s[22:23], v[84:85]
	v_add_f64 v[246:247], v[64:65], v[58:59]
	v_add_f64 v[238:239], v[70:71], -v[74:75]
	v_add_f64 v[242:243], v[72:73], v[68:69]
	v_add_f64 v[244:245], v[52:53], -v[60:61]
	;; [unrolled: 2-line block ×3, first 2 shown]
	s_and_saveexec_b32 s0, vcc_lo
	s_cbranch_execz .LBB0_5
; %bb.4:
	v_add_f64 v[10:11], v[58:59], -v[64:65]
	v_add_f64 v[8:9], v[60:61], v[52:53]
	v_add_f64 v[6:7], v[68:69], -v[72:73]
	v_add_f64 v[4:5], v[66:67], v[56:57]
	v_add_f64 v[2:3], v[74:75], v[70:71]
	v_add_f64 v[0:1], v[54:55], -v[62:63]
	ds_write_b128 v92, v[48:51] offset:3584
	ds_write_b128 v93, v[236:239] offset:22016
	ds_write_b128 v93, v[240:243] offset:26624
	ds_write_b128 v93, v[8:11] offset:8192
	ds_write_b128 v93, v[4:7] offset:12800
	ds_write_b128 v93, v[0:3] offset:17408
	ds_write_b128 v93, v[244:247] offset:31232
.LBB0_5:
	s_or_b32 exec_lo, exec_lo, s0
	v_mov_b32_e32 v248, v16
	s_add_u32 s4, s12, 0x7e00
	s_addc_u32 s5, s13, 0
	s_waitcnt lgkmcnt(0)
	s_waitcnt_vscnt null, 0x0
	s_barrier
	v_lshlrev_b32_e32 v14, 4, v248
	buffer_gl0_inv
	ds_read_b128 v[0:3], v92
	global_load_dwordx4 v[6:9], v14, s[4:5]
	v_add_co_u32 v4, s0, s4, v14
	v_add_co_ci_u32_e64 v5, null, s5, 0, s0
	s_waitcnt vmcnt(0) lgkmcnt(0)
	v_mul_f64 v[10:11], v[2:3], v[8:9]
	v_fma_f64 v[10:11], v[0:1], v[6:7], -v[10:11]
	v_mul_f64 v[0:1], v[0:1], v[8:9]
	v_fma_f64 v[12:13], v[2:3], v[6:7], v[0:1]
	v_add_co_u32 v6, s0, 0x3800, v4
	v_add_co_ci_u32_e64 v7, s0, 0, v5, s0
	ds_read_b128 v[0:3], v92 offset:16128
	global_load_dwordx4 v[6:9], v[6:7], off offset:1792
	ds_write_b128 v92, v[10:13]
	s_waitcnt vmcnt(0) lgkmcnt(1)
	v_mul_f64 v[10:11], v[2:3], v[8:9]
	v_fma_f64 v[10:11], v[0:1], v[6:7], -v[10:11]
	v_mul_f64 v[0:1], v[0:1], v[8:9]
	v_fma_f64 v[12:13], v[2:3], v[6:7], v[0:1]
	global_load_dwordx4 v[6:9], v14, s[4:5] offset:1792
	ds_read_b128 v[0:3], v92 offset:1792
	ds_write_b128 v92, v[10:13] offset:16128
	s_waitcnt vmcnt(0) lgkmcnt(1)
	v_mul_f64 v[10:11], v[2:3], v[8:9]
	v_fma_f64 v[10:11], v[0:1], v[6:7], -v[10:11]
	v_mul_f64 v[0:1], v[0:1], v[8:9]
	v_fma_f64 v[12:13], v[2:3], v[6:7], v[0:1]
	v_add_co_u32 v6, s0, 0x4000, v4
	v_add_co_ci_u32_e64 v7, s0, 0, v5, s0
	ds_read_b128 v[0:3], v92 offset:17920
	global_load_dwordx4 v[6:9], v[6:7], off offset:1536
	ds_write_b128 v92, v[10:13] offset:1792
	s_waitcnt vmcnt(0) lgkmcnt(1)
	v_mul_f64 v[10:11], v[2:3], v[8:9]
	v_fma_f64 v[10:11], v[0:1], v[6:7], -v[10:11]
	v_mul_f64 v[0:1], v[0:1], v[8:9]
	v_fma_f64 v[12:13], v[2:3], v[6:7], v[0:1]
	v_add_co_u32 v6, s0, 0x800, v4
	v_add_co_ci_u32_e64 v7, s0, 0, v5, s0
	ds_read_b128 v[0:3], v92 offset:3584
	global_load_dwordx4 v[6:9], v[6:7], off offset:1536
	;; [unrolled: 10-line block ×11, first 2 shown]
	ds_write_b128 v92, v[10:13] offset:10752
	s_waitcnt vmcnt(0) lgkmcnt(1)
	v_mul_f64 v[10:11], v[2:3], v[8:9]
	v_fma_f64 v[10:11], v[0:1], v[6:7], -v[10:11]
	v_mul_f64 v[0:1], v[0:1], v[8:9]
	v_fma_f64 v[12:13], v[2:3], v[6:7], v[0:1]
	v_add_co_u32 v6, s0, 0x3000, v4
	v_add_co_ci_u32_e64 v7, s0, 0, v5, s0
	ds_read_b128 v[0:3], v92 offset:12544
	v_add_co_u32 v4, s0, 0x7000, v4
	global_load_dwordx4 v[6:9], v[6:7], off offset:256
	v_add_co_ci_u32_e64 v5, s0, 0, v5, s0
	s_mov_b32 s0, 0xe8584caa
	s_mov_b32 s1, 0xbfebb67a
	ds_write_b128 v92, v[10:13] offset:26880
	s_waitcnt vmcnt(0) lgkmcnt(1)
	v_mul_f64 v[10:11], v[2:3], v[8:9]
	v_fma_f64 v[10:11], v[0:1], v[6:7], -v[10:11]
	v_mul_f64 v[0:1], v[0:1], v[8:9]
	v_fma_f64 v[12:13], v[2:3], v[6:7], v[0:1]
	buffer_load_dword v6, off, s[28:31], 0 offset:376 ; 4-byte Folded Reload
	ds_read_b128 v[0:3], v92 offset:28672
	ds_write_b128 v92, v[10:13] offset:12544
	s_waitcnt vmcnt(0)
	global_load_dwordx4 v[6:9], v6, s[4:5]
	s_waitcnt vmcnt(0) lgkmcnt(1)
	v_mul_f64 v[10:11], v[2:3], v[8:9]
	v_fma_f64 v[10:11], v[0:1], v[6:7], -v[10:11]
	v_mul_f64 v[0:1], v[0:1], v[8:9]
	v_fma_f64 v[12:13], v[2:3], v[6:7], v[0:1]
	buffer_load_dword v6, off, s[28:31], 0 offset:372 ; 4-byte Folded Reload
	ds_read_b128 v[0:3], v92 offset:14336
	ds_write_b128 v92, v[10:13] offset:28672
	s_waitcnt vmcnt(0)
	global_load_dwordx4 v[6:9], v6, s[4:5]
	s_mov_b32 s5, 0x3febb67a
	s_mov_b32 s4, s0
	s_waitcnt vmcnt(0) lgkmcnt(1)
	v_mul_f64 v[10:11], v[2:3], v[8:9]
	v_fma_f64 v[10:11], v[0:1], v[6:7], -v[10:11]
	v_mul_f64 v[0:1], v[0:1], v[8:9]
	v_fma_f64 v[12:13], v[2:3], v[6:7], v[0:1]
	global_load_dwordx4 v[4:7], v[4:5], off offset:1792
	ds_read_b128 v[0:3], v92 offset:30464
	ds_write_b128 v92, v[10:13] offset:14336
	s_waitcnt vmcnt(0) lgkmcnt(1)
	v_mul_f64 v[8:9], v[2:3], v[6:7]
	v_fma_f64 v[8:9], v[0:1], v[4:5], -v[8:9]
	v_mul_f64 v[0:1], v[0:1], v[6:7]
	v_fma_f64 v[10:11], v[2:3], v[4:5], v[0:1]
	ds_write_b128 v92, v[8:11] offset:30464
	s_waitcnt lgkmcnt(0)
	s_barrier
	buffer_gl0_inv
	ds_read_b128 v[0:3], v92
	ds_read_b128 v[4:7], v92 offset:16128
	ds_read_b128 v[8:11], v92 offset:1792
	;; [unrolled: 1-line block ×17, first 2 shown]
	s_waitcnt lgkmcnt(0)
	s_barrier
	buffer_gl0_inv
	buffer_load_dword v72, off, s[28:31], 0 offset:440 ; 4-byte Folded Reload
	v_add_f64 v[4:5], v[0:1], -v[4:5]
	v_add_f64 v[6:7], v[2:3], -v[6:7]
	;; [unrolled: 1-line block ×18, first 2 shown]
	v_fma_f64 v[0:1], v[0:1], 2.0, -v[4:5]
	v_fma_f64 v[2:3], v[2:3], 2.0, -v[6:7]
	;; [unrolled: 1-line block ×18, first 2 shown]
	s_waitcnt vmcnt(0)
	ds_write_b128 v72, v[0:3]
	ds_write_b128 v72, v[4:7] offset:16
	buffer_load_dword v0, off, s[28:31], 0 offset:428 ; 4-byte Folded Reload
	s_waitcnt vmcnt(0)
	ds_write_b128 v0, v[8:11]
	ds_write_b128 v0, v[12:15] offset:16
	buffer_load_dword v0, off, s[28:31], 0 offset:416 ; 4-byte Folded Reload
	;; [unrolled: 4-line block ×8, first 2 shown]
	s_waitcnt vmcnt(0)
	ds_write_b128 v0, v[64:67]
	ds_write_b128 v0, v[68:71] offset:16
	s_waitcnt lgkmcnt(0)
	s_barrier
	buffer_gl0_inv
	ds_read_b128 v[0:3], v92
	ds_read_b128 v[4:7], v92 offset:16128
	ds_read_b128 v[8:11], v92 offset:1792
	;; [unrolled: 1-line block ×17, first 2 shown]
	s_waitcnt lgkmcnt(0)
	s_barrier
	buffer_gl0_inv
	v_mul_f64 v[72:73], v[134:135], v[6:7]
	v_fma_f64 v[72:73], v[132:133], v[4:5], v[72:73]
	v_mul_f64 v[4:5], v[134:135], v[4:5]
	v_fma_f64 v[6:7], v[132:133], v[6:7], -v[4:5]
	v_mul_f64 v[4:5], v[134:135], v[14:15]
	v_add_f64 v[6:7], v[2:3], -v[6:7]
	v_fma_f64 v[74:75], v[132:133], v[12:13], v[4:5]
	v_mul_f64 v[4:5], v[134:135], v[12:13]
	v_fma_f64 v[2:3], v[2:3], 2.0, -v[6:7]
	v_add_f64 v[12:13], v[8:9], -v[74:75]
	v_fma_f64 v[14:15], v[132:133], v[14:15], -v[4:5]
	v_mul_f64 v[4:5], v[134:135], v[22:23]
	v_fma_f64 v[8:9], v[8:9], 2.0, -v[12:13]
	v_add_f64 v[14:15], v[10:11], -v[14:15]
	v_fma_f64 v[76:77], v[132:133], v[20:21], v[4:5]
	v_mul_f64 v[4:5], v[134:135], v[20:21]
	v_fma_f64 v[10:11], v[10:11], 2.0, -v[14:15]
	v_add_f64 v[20:21], v[16:17], -v[76:77]
	v_fma_f64 v[22:23], v[132:133], v[22:23], -v[4:5]
	v_mul_f64 v[4:5], v[134:135], v[30:31]
	v_fma_f64 v[16:17], v[16:17], 2.0, -v[20:21]
	;; [unrolled: 8-line block ×7, first 2 shown]
	v_add_f64 v[62:63], v[58:59], -v[62:63]
	v_fma_f64 v[94:95], v[132:133], v[68:69], v[4:5]
	v_mul_f64 v[4:5], v[134:135], v[68:69]
	v_fma_f64 v[58:59], v[58:59], 2.0, -v[62:63]
	v_add_f64 v[68:69], v[64:65], -v[94:95]
	v_fma_f64 v[70:71], v[132:133], v[70:71], -v[4:5]
	v_add_f64 v[4:5], v[0:1], -v[72:73]
	buffer_load_dword v72, off, s[28:31], 0 offset:480 ; 4-byte Folded Reload
	v_fma_f64 v[64:65], v[64:65], 2.0, -v[68:69]
	v_add_f64 v[70:71], v[66:67], -v[70:71]
	v_fma_f64 v[0:1], v[0:1], 2.0, -v[4:5]
	s_waitcnt vmcnt(0)
	ds_write_b128 v72, v[0:3]
	ds_write_b128 v72, v[4:7] offset:32
	buffer_load_dword v0, off, s[28:31], 0 offset:472 ; 4-byte Folded Reload
	v_fma_f64 v[66:67], v[66:67], 2.0, -v[70:71]
	s_waitcnt vmcnt(0)
	ds_write_b128 v0, v[8:11]
	ds_write_b128 v0, v[12:15] offset:32
	buffer_load_dword v0, off, s[28:31], 0 offset:464 ; 4-byte Folded Reload
	s_waitcnt vmcnt(0)
	ds_write_b128 v0, v[16:19]
	ds_write_b128 v0, v[20:23] offset:32
	buffer_load_dword v0, off, s[28:31], 0 offset:452 ; 4-byte Folded Reload
	;; [unrolled: 4-line block ×7, first 2 shown]
	s_waitcnt vmcnt(0)
	ds_write_b128 v0, v[64:67]
	ds_write_b128 v0, v[68:71] offset:32
	s_waitcnt lgkmcnt(0)
	s_barrier
	buffer_gl0_inv
	ds_read_b128 v[0:3], v92
	ds_read_b128 v[4:7], v92 offset:16128
	ds_read_b128 v[8:11], v92 offset:1792
	;; [unrolled: 1-line block ×17, first 2 shown]
	s_waitcnt lgkmcnt(0)
	s_barrier
	buffer_gl0_inv
	v_mul_f64 v[72:73], v[170:171], v[6:7]
	v_fma_f64 v[72:73], v[168:169], v[4:5], v[72:73]
	v_mul_f64 v[4:5], v[170:171], v[4:5]
	v_fma_f64 v[6:7], v[168:169], v[6:7], -v[4:5]
	v_mul_f64 v[4:5], v[170:171], v[14:15]
	v_add_f64 v[6:7], v[2:3], -v[6:7]
	v_fma_f64 v[74:75], v[168:169], v[12:13], v[4:5]
	v_mul_f64 v[4:5], v[170:171], v[12:13]
	v_fma_f64 v[2:3], v[2:3], 2.0, -v[6:7]
	v_add_f64 v[12:13], v[8:9], -v[74:75]
	v_fma_f64 v[14:15], v[168:169], v[14:15], -v[4:5]
	v_mul_f64 v[4:5], v[170:171], v[22:23]
	v_fma_f64 v[8:9], v[8:9], 2.0, -v[12:13]
	v_add_f64 v[14:15], v[10:11], -v[14:15]
	v_fma_f64 v[76:77], v[168:169], v[20:21], v[4:5]
	v_mul_f64 v[4:5], v[170:171], v[20:21]
	v_fma_f64 v[10:11], v[10:11], 2.0, -v[14:15]
	v_add_f64 v[20:21], v[16:17], -v[76:77]
	v_fma_f64 v[22:23], v[168:169], v[22:23], -v[4:5]
	v_mul_f64 v[4:5], v[170:171], v[30:31]
	v_fma_f64 v[16:17], v[16:17], 2.0, -v[20:21]
	;; [unrolled: 8-line block ×7, first 2 shown]
	v_add_f64 v[62:63], v[58:59], -v[62:63]
	v_fma_f64 v[94:95], v[168:169], v[68:69], v[4:5]
	v_mul_f64 v[4:5], v[170:171], v[68:69]
	v_fma_f64 v[58:59], v[58:59], 2.0, -v[62:63]
	v_add_f64 v[68:69], v[64:65], -v[94:95]
	v_fma_f64 v[70:71], v[168:169], v[70:71], -v[4:5]
	v_add_f64 v[4:5], v[0:1], -v[72:73]
	buffer_load_dword v72, off, s[28:31], 0 offset:508 ; 4-byte Folded Reload
	v_fma_f64 v[64:65], v[64:65], 2.0, -v[68:69]
	v_add_f64 v[70:71], v[66:67], -v[70:71]
	v_fma_f64 v[0:1], v[0:1], 2.0, -v[4:5]
	s_waitcnt vmcnt(0)
	ds_write_b128 v72, v[0:3]
	ds_write_b128 v72, v[4:7] offset:64
	buffer_load_dword v0, off, s[28:31], 0 offset:500 ; 4-byte Folded Reload
	v_fma_f64 v[66:67], v[66:67], 2.0, -v[70:71]
	s_waitcnt vmcnt(0)
	ds_write_b128 v0, v[8:11]
	ds_write_b128 v0, v[12:15] offset:64
	buffer_load_dword v0, off, s[28:31], 0 offset:492 ; 4-byte Folded Reload
	s_waitcnt vmcnt(0)
	ds_write_b128 v0, v[16:19]
	ds_write_b128 v0, v[20:23] offset:64
	buffer_load_dword v0, off, s[28:31], 0 offset:484 ; 4-byte Folded Reload
	s_waitcnt vmcnt(0)
	ds_write_b128 v0, v[24:27]
	ds_write_b128 v0, v[28:31] offset:64
	buffer_load_dword v0, off, s[28:31], 0 offset:468 ; 4-byte Folded Reload
	s_waitcnt vmcnt(0)
	ds_write_b128 v0, v[32:35]
	ds_write_b128 v0, v[36:39] offset:64
	buffer_load_dword v0, off, s[28:31], 0 offset:460 ; 4-byte Folded Reload
	s_waitcnt vmcnt(0)
	ds_write_b128 v0, v[40:43]
	ds_write_b128 v0, v[44:47] offset:64
	buffer_load_dword v0, off, s[28:31], 0 offset:444 ; 4-byte Folded Reload
	s_waitcnt vmcnt(0)
	ds_write_b128 v0, v[48:51]
	ds_write_b128 v0, v[52:55] offset:64
	buffer_load_dword v0, off, s[28:31], 0 offset:432 ; 4-byte Folded Reload
	s_waitcnt vmcnt(0)
	ds_write_b128 v0, v[56:59]
	ds_write_b128 v0, v[60:63] offset:64
	buffer_load_dword v0, off, s[28:31], 0 offset:420 ; 4-byte Folded Reload
	s_waitcnt vmcnt(0)
	ds_write_b128 v0, v[64:67]
	ds_write_b128 v0, v[68:71] offset:64
	s_waitcnt lgkmcnt(0)
	s_barrier
	buffer_gl0_inv
	ds_read_b128 v[0:3], v92
	ds_read_b128 v[4:7], v92 offset:16128
	ds_read_b128 v[8:11], v92 offset:1792
	;; [unrolled: 1-line block ×17, first 2 shown]
	s_waitcnt lgkmcnt(0)
	s_barrier
	buffer_gl0_inv
	v_mul_f64 v[72:73], v[186:187], v[6:7]
	v_fma_f64 v[72:73], v[184:185], v[4:5], v[72:73]
	v_mul_f64 v[4:5], v[186:187], v[4:5]
	v_fma_f64 v[6:7], v[184:185], v[6:7], -v[4:5]
	v_mul_f64 v[4:5], v[186:187], v[14:15]
	v_add_f64 v[6:7], v[2:3], -v[6:7]
	v_fma_f64 v[74:75], v[184:185], v[12:13], v[4:5]
	v_mul_f64 v[4:5], v[186:187], v[12:13]
	v_fma_f64 v[2:3], v[2:3], 2.0, -v[6:7]
	v_add_f64 v[12:13], v[8:9], -v[74:75]
	v_fma_f64 v[14:15], v[184:185], v[14:15], -v[4:5]
	v_mul_f64 v[4:5], v[186:187], v[22:23]
	v_fma_f64 v[8:9], v[8:9], 2.0, -v[12:13]
	v_add_f64 v[14:15], v[10:11], -v[14:15]
	v_fma_f64 v[76:77], v[184:185], v[20:21], v[4:5]
	v_mul_f64 v[4:5], v[186:187], v[20:21]
	v_fma_f64 v[10:11], v[10:11], 2.0, -v[14:15]
	v_add_f64 v[20:21], v[16:17], -v[76:77]
	v_fma_f64 v[22:23], v[184:185], v[22:23], -v[4:5]
	v_mul_f64 v[4:5], v[186:187], v[30:31]
	v_fma_f64 v[16:17], v[16:17], 2.0, -v[20:21]
	;; [unrolled: 8-line block ×7, first 2 shown]
	v_add_f64 v[62:63], v[58:59], -v[62:63]
	v_fma_f64 v[94:95], v[184:185], v[68:69], v[4:5]
	v_mul_f64 v[4:5], v[186:187], v[68:69]
	v_fma_f64 v[58:59], v[58:59], 2.0, -v[62:63]
	v_add_f64 v[68:69], v[64:65], -v[94:95]
	v_fma_f64 v[70:71], v[184:185], v[70:71], -v[4:5]
	v_add_f64 v[4:5], v[0:1], -v[72:73]
	buffer_load_dword v72, off, s[28:31], 0 offset:520 ; 4-byte Folded Reload
	v_fma_f64 v[64:65], v[64:65], 2.0, -v[68:69]
	v_add_f64 v[70:71], v[66:67], -v[70:71]
	v_fma_f64 v[0:1], v[0:1], 2.0, -v[4:5]
	s_waitcnt vmcnt(0)
	ds_write_b128 v72, v[0:3]
	ds_write_b128 v72, v[4:7] offset:128
	buffer_load_dword v0, off, s[28:31], 0 offset:516 ; 4-byte Folded Reload
	v_fma_f64 v[66:67], v[66:67], 2.0, -v[70:71]
	s_waitcnt vmcnt(0)
	ds_write_b128 v0, v[8:11]
	ds_write_b128 v0, v[12:15] offset:128
	buffer_load_dword v0, off, s[28:31], 0 offset:512 ; 4-byte Folded Reload
	s_waitcnt vmcnt(0)
	ds_write_b128 v0, v[16:19]
	ds_write_b128 v0, v[20:23] offset:128
	buffer_load_dword v0, off, s[28:31], 0 offset:504 ; 4-byte Folded Reload
	;; [unrolled: 4-line block ×7, first 2 shown]
	s_waitcnt vmcnt(0)
	ds_write_b128 v0, v[64:67]
	ds_write_b128 v0, v[68:71] offset:128
	s_waitcnt lgkmcnt(0)
	s_barrier
	buffer_gl0_inv
	ds_read_b128 v[0:3], v92
	ds_read_b128 v[4:7], v92 offset:16128
	ds_read_b128 v[8:11], v92 offset:1792
	;; [unrolled: 1-line block ×17, first 2 shown]
	s_waitcnt lgkmcnt(0)
	s_barrier
	buffer_gl0_inv
	v_mul_f64 v[72:73], v[202:203], v[6:7]
	v_fma_f64 v[72:73], v[200:201], v[4:5], v[72:73]
	v_mul_f64 v[4:5], v[202:203], v[4:5]
	v_fma_f64 v[6:7], v[200:201], v[6:7], -v[4:5]
	v_mul_f64 v[4:5], v[202:203], v[14:15]
	v_add_f64 v[6:7], v[2:3], -v[6:7]
	v_fma_f64 v[74:75], v[200:201], v[12:13], v[4:5]
	v_mul_f64 v[4:5], v[202:203], v[12:13]
	v_fma_f64 v[2:3], v[2:3], 2.0, -v[6:7]
	v_add_f64 v[12:13], v[8:9], -v[74:75]
	v_fma_f64 v[14:15], v[200:201], v[14:15], -v[4:5]
	v_mul_f64 v[4:5], v[202:203], v[22:23]
	v_fma_f64 v[8:9], v[8:9], 2.0, -v[12:13]
	v_add_f64 v[14:15], v[10:11], -v[14:15]
	v_fma_f64 v[76:77], v[200:201], v[20:21], v[4:5]
	v_mul_f64 v[4:5], v[202:203], v[20:21]
	v_fma_f64 v[10:11], v[10:11], 2.0, -v[14:15]
	v_add_f64 v[20:21], v[16:17], -v[76:77]
	v_fma_f64 v[22:23], v[200:201], v[22:23], -v[4:5]
	v_mul_f64 v[4:5], v[202:203], v[30:31]
	v_fma_f64 v[16:17], v[16:17], 2.0, -v[20:21]
	;; [unrolled: 8-line block ×7, first 2 shown]
	v_add_f64 v[62:63], v[58:59], -v[62:63]
	v_fma_f64 v[94:95], v[200:201], v[68:69], v[4:5]
	v_mul_f64 v[4:5], v[202:203], v[68:69]
	v_fma_f64 v[58:59], v[58:59], 2.0, -v[62:63]
	v_add_f64 v[68:69], v[64:65], -v[94:95]
	v_fma_f64 v[70:71], v[200:201], v[70:71], -v[4:5]
	v_add_f64 v[4:5], v[0:1], -v[72:73]
	buffer_load_dword v72, off, s[28:31], 0 offset:564 ; 4-byte Folded Reload
	v_fma_f64 v[64:65], v[64:65], 2.0, -v[68:69]
	v_add_f64 v[70:71], v[66:67], -v[70:71]
	v_fma_f64 v[0:1], v[0:1], 2.0, -v[4:5]
	s_waitcnt vmcnt(0)
	ds_write_b128 v72, v[0:3]
	ds_write_b128 v72, v[4:7] offset:256
	buffer_load_dword v0, off, s[28:31], 0 offset:560 ; 4-byte Folded Reload
	v_fma_f64 v[66:67], v[66:67], 2.0, -v[70:71]
	s_waitcnt vmcnt(0)
	ds_write_b128 v0, v[8:11]
	ds_write_b128 v0, v[12:15] offset:256
	buffer_load_dword v0, off, s[28:31], 0 offset:556 ; 4-byte Folded Reload
	s_waitcnt vmcnt(0)
	ds_write_b128 v0, v[16:19]
	ds_write_b128 v0, v[20:23] offset:256
	buffer_load_dword v0, off, s[28:31], 0 offset:552 ; 4-byte Folded Reload
	;; [unrolled: 4-line block ×7, first 2 shown]
	s_waitcnt vmcnt(0)
	ds_write_b128 v0, v[64:67]
	ds_write_b128 v0, v[68:71] offset:256
	s_waitcnt lgkmcnt(0)
	s_barrier
	buffer_gl0_inv
	ds_read_b128 v[4:7], v92
	ds_read_b128 v[0:3], v92 offset:10752
	ds_read_b128 v[34:37], v92 offset:21504
	;; [unrolled: 1-line block ×17, first 2 shown]
	s_waitcnt lgkmcnt(16)
	v_mul_f64 v[8:9], v[210:211], v[2:3]
	v_fma_f64 v[10:11], v[208:209], v[0:1], v[8:9]
	v_mul_f64 v[0:1], v[210:211], v[0:1]
	v_fma_f64 v[50:51], v[208:209], v[2:3], -v[0:1]
	s_clause 0x1
	buffer_load_dword v2, off, s[28:31], 0 offset:568
	buffer_load_dword v3, off, s[28:31], 0 offset:572
	s_waitcnt lgkmcnt(15)
	v_mul_f64 v[0:1], v[214:215], v[36:37]
	v_fma_f64 v[32:33], v[212:213], v[34:35], v[0:1]
	v_mul_f64 v[0:1], v[214:215], v[34:35]
	v_fma_f64 v[52:53], v[212:213], v[36:37], -v[0:1]
	s_waitcnt lgkmcnt(13)
	v_mul_f64 v[0:1], v[222:223], v[40:41]
	s_waitcnt vmcnt(0)
	v_fma_f64 v[34:35], v[2:3], v[38:39], v[0:1]
	v_mul_f64 v[0:1], v[222:223], v[38:39]
	v_fma_f64 v[44:45], v[2:3], v[40:41], -v[0:1]
	s_waitcnt lgkmcnt(12)
	v_mul_f64 v[0:1], v[218:219], v[56:57]
	s_clause 0x1
	buffer_load_dword v2, off, s[28:31], 0 offset:544
	buffer_load_dword v3, off, s[28:31], 0 offset:548
	s_waitcnt vmcnt(0) lgkmcnt(0)
	s_barrier
	buffer_gl0_inv
	v_fma_f64 v[46:47], v[226:227], v[54:55], v[0:1]
	v_mul_f64 v[0:1], v[218:219], v[54:55]
	v_fma_f64 v[48:49], v[226:227], v[56:57], -v[0:1]
	v_mul_f64 v[0:1], v[210:211], v[60:61]
	v_fma_f64 v[36:37], v[208:209], v[58:59], v[0:1]
	v_mul_f64 v[0:1], v[210:211], v[58:59]
	v_fma_f64 v[38:39], v[208:209], v[60:61], -v[0:1]
	v_mul_f64 v[0:1], v[214:215], v[64:65]
	;; [unrolled: 4-line block ×8, first 2 shown]
	v_fma_f64 v[72:73], v[216:217], v[200:201], v[0:1]
	v_mul_f64 v[0:1], v[2:3], v[200:201]
	v_add_f64 v[2:3], v[10:11], v[32:33]
	v_fma_f64 v[212:213], v[216:217], v[202:203], -v[0:1]
	v_add_f64 v[0:1], v[4:5], v[10:11]
	v_fma_f64 v[2:3], v[2:3], -0.5, v[4:5]
	v_add_f64 v[4:5], v[50:51], -v[52:53]
	v_add_f64 v[0:1], v[0:1], v[32:33]
	v_add_f64 v[32:33], v[10:11], -v[32:33]
	v_fma_f64 v[8:9], v[4:5], s[0:1], v[2:3]
	v_fma_f64 v[4:5], v[4:5], s[4:5], v[2:3]
	v_add_f64 v[2:3], v[6:7], v[50:51]
	v_add_f64 v[50:51], v[50:51], v[52:53]
	v_add_f64 v[2:3], v[2:3], v[52:53]
	v_fma_f64 v[6:7], v[50:51], -0.5, v[6:7]
	v_add_f64 v[52:53], v[66:67], -v[72:73]
	v_fma_f64 v[10:11], v[32:33], s[4:5], v[6:7]
	v_fma_f64 v[6:7], v[32:33], s[0:1], v[6:7]
	v_add_f64 v[32:33], v[28:29], v[34:35]
	v_add_f64 v[208:209], v[32:33], v[46:47]
	v_add_f64 v[32:33], v[34:35], v[46:47]
	v_fma_f64 v[28:29], v[32:33], -0.5, v[28:29]
	;; [unrolled: 7-line block ×7, first 2 shown]
	v_add_f64 v[18:19], v[54:55], -v[58:59]
	v_fma_f64 v[50:51], v[18:19], s[4:5], v[16:17]
	v_fma_f64 v[26:27], v[18:19], s[0:1], v[16:17]
	v_add_f64 v[16:17], v[20:21], v[60:61]
	v_add_f64 v[18:19], v[64:65], -v[74:75]
	v_add_f64 v[44:45], v[16:17], v[70:71]
	v_add_f64 v[16:17], v[60:61], v[70:71]
	v_fma_f64 v[16:17], v[16:17], -0.5, v[20:21]
	v_add_f64 v[20:21], v[60:61], -v[70:71]
	v_fma_f64 v[40:41], v[18:19], s[0:1], v[16:17]
	v_fma_f64 v[16:17], v[18:19], s[4:5], v[16:17]
	v_add_f64 v[18:19], v[22:23], v[64:65]
	v_add_f64 v[46:47], v[18:19], v[74:75]
	;; [unrolled: 1-line block ×3, first 2 shown]
	v_fma_f64 v[18:19], v[18:19], -0.5, v[22:23]
	v_add_f64 v[22:23], v[68:69], -v[212:213]
	v_fma_f64 v[42:43], v[20:21], s[4:5], v[18:19]
	v_fma_f64 v[18:19], v[20:21], s[0:1], v[18:19]
	v_add_f64 v[20:21], v[12:13], v[66:67]
	v_add_f64 v[36:37], v[20:21], v[72:73]
	;; [unrolled: 1-line block ×3, first 2 shown]
	v_fma_f64 v[12:13], v[20:21], -0.5, v[12:13]
	v_fma_f64 v[20:21], v[22:23], s[0:1], v[12:13]
	v_fma_f64 v[12:13], v[22:23], s[4:5], v[12:13]
	v_add_f64 v[22:23], v[14:15], v[68:69]
	v_add_f64 v[38:39], v[22:23], v[212:213]
	;; [unrolled: 1-line block ×3, first 2 shown]
	v_fma_f64 v[14:15], v[22:23], -0.5, v[14:15]
	v_fma_f64 v[22:23], v[52:53], s[4:5], v[14:15]
	v_fma_f64 v[14:15], v[52:53], s[0:1], v[14:15]
	buffer_load_dword v52, off, s[28:31], 0 offset:348 ; 4-byte Folded Reload
	s_waitcnt vmcnt(0)
	ds_write_b128 v52, v[0:3]
	ds_write_b128 v52, v[8:11] offset:512
	ds_write_b128 v52, v[4:7] offset:1024
	buffer_load_dword v0, off, s[28:31], 0 offset:356 ; 4-byte Folded Reload
	s_waitcnt vmcnt(0)
	ds_write_b128 v0, v[208:211]
	ds_write_b128 v0, v[200:203] offset:512
	ds_write_b128 v0, v[32:35] offset:1024
	buffer_load_dword v0, off, s[28:31], 0 offset:368 ; 4-byte Folded Reload
	s_waitcnt vmcnt(0)
	ds_write_b128 v0, v[184:187]
	ds_write_b128 v0, v[168:171] offset:512
	ds_write_b128 v0, v[28:31] offset:1024
	buffer_load_dword v0, off, s[28:31], 0 offset:364 ; 4-byte Folded Reload
	s_waitcnt vmcnt(0)
	ds_write_b128 v0, v[132:135]
	ds_write_b128 v0, v[48:51] offset:512
	ds_write_b128 v0, v[24:27] offset:1024
	buffer_load_dword v0, off, s[28:31], 0 offset:360 ; 4-byte Folded Reload
	s_waitcnt vmcnt(0)
	ds_write_b128 v0, v[44:47]
	ds_write_b128 v0, v[40:43] offset:512
	ds_write_b128 v0, v[16:19] offset:1024
	buffer_load_dword v0, off, s[28:31], 0 offset:352 ; 4-byte Folded Reload
	s_waitcnt vmcnt(0)
	ds_write_b128 v0, v[36:39]
	ds_write_b128 v0, v[20:23] offset:512
	ds_write_b128 v0, v[12:15] offset:1024
	s_waitcnt lgkmcnt(0)
	s_barrier
	buffer_gl0_inv
	ds_read_b128 v[12:15], v92
	ds_read_b128 v[16:19], v92 offset:10752
	ds_read_b128 v[20:23], v92 offset:21504
	;; [unrolled: 1-line block ×17, first 2 shown]
	s_waitcnt lgkmcnt(0)
	s_barrier
	buffer_gl0_inv
	v_mul_f64 v[72:73], v[130:131], v[18:19]
	v_fma_f64 v[72:73], v[128:129], v[16:17], v[72:73]
	v_mul_f64 v[16:17], v[130:131], v[16:17]
	v_fma_f64 v[74:75], v[128:129], v[18:19], -v[16:17]
	v_mul_f64 v[16:17], v[146:147], v[22:23]
	v_fma_f64 v[76:77], v[144:145], v[20:21], v[16:17]
	v_mul_f64 v[16:17], v[146:147], v[20:21]
	v_add_f64 v[18:19], v[72:73], v[76:77]
	v_fma_f64 v[22:23], v[144:145], v[22:23], -v[16:17]
	v_mul_f64 v[16:17], v[174:175], v[30:31]
	v_fma_f64 v[78:79], v[172:173], v[28:29], v[16:17]
	v_mul_f64 v[16:17], v[174:175], v[28:29]
	v_fma_f64 v[80:81], v[172:173], v[30:31], -v[16:17]
	v_mul_f64 v[16:17], v[162:163], v[34:35]
	v_fma_f64 v[82:83], v[160:161], v[32:33], v[16:17]
	v_mul_f64 v[16:17], v[162:163], v[32:33]
	;; [unrolled: 4-line block ×10, first 2 shown]
	v_fma_f64 v[170:171], v[176:177], v[70:71], -v[16:17]
	v_add_f64 v[16:17], v[12:13], v[72:73]
	v_fma_f64 v[12:13], v[18:19], -0.5, v[12:13]
	v_add_f64 v[18:19], v[74:75], -v[22:23]
	v_add_f64 v[16:17], v[16:17], v[76:77]
	v_fma_f64 v[20:21], v[18:19], s[0:1], v[12:13]
	v_fma_f64 v[28:29], v[18:19], s[4:5], v[12:13]
	v_add_f64 v[12:13], v[14:15], v[74:75]
	v_add_f64 v[18:19], v[12:13], v[22:23]
	;; [unrolled: 1-line block ×3, first 2 shown]
	v_fma_f64 v[12:13], v[12:13], -0.5, v[14:15]
	v_add_f64 v[14:15], v[72:73], -v[76:77]
	v_add_f64 v[72:73], v[164:165], -v[168:169]
	v_fma_f64 v[22:23], v[14:15], s[4:5], v[12:13]
	v_fma_f64 v[30:31], v[14:15], s[0:1], v[12:13]
	v_add_f64 v[12:13], v[24:25], v[78:79]
	v_add_f64 v[14:15], v[80:81], -v[84:85]
	v_add_f64 v[32:33], v[12:13], v[82:83]
	v_add_f64 v[12:13], v[78:79], v[82:83]
	v_fma_f64 v[12:13], v[12:13], -0.5, v[24:25]
	v_fma_f64 v[24:25], v[14:15], s[0:1], v[12:13]
	v_fma_f64 v[40:41], v[14:15], s[4:5], v[12:13]
	v_add_f64 v[12:13], v[26:27], v[80:81]
	v_add_f64 v[14:15], v[78:79], -v[82:83]
	v_add_f64 v[34:35], v[12:13], v[84:85]
	v_add_f64 v[12:13], v[80:81], v[84:85]
	v_fma_f64 v[12:13], v[12:13], -0.5, v[26:27]
	;; [unrolled: 7-line block ×4, first 2 shown]
	v_fma_f64 v[38:39], v[14:15], s[4:5], v[12:13]
	v_fma_f64 v[50:51], v[14:15], s[0:1], v[12:13]
	ds_write_b128 v113, v[16:19]
	ds_write_b128 v113, v[20:23] offset:1536
	ds_write_b128 v113, v[28:31] offset:3072
	ds_write_b128 v114, v[32:35]
	ds_write_b128 v114, v[24:27] offset:1536
	ds_write_b128 v114, v[40:43] offset:3072
	;; [unrolled: 3-line block ×3, first 2 shown]
	buffer_load_dword v16, off, s[28:31], 0 offset:336 ; 4-byte Folded Reload
	v_add_f64 v[12:13], v[4:5], v[132:133]
	v_add_f64 v[14:15], v[166:167], v[170:171]
	;; [unrolled: 1-line block ×4, first 2 shown]
	v_fma_f64 v[14:15], v[14:15], -0.5, v[10:11]
	v_fma_f64 v[4:5], v[12:13], -0.5, v[4:5]
	v_add_f64 v[12:13], v[134:135], -v[146:147]
	v_fma_f64 v[56:57], v[12:13], s[0:1], v[4:5]
	v_fma_f64 v[60:61], v[12:13], s[4:5], v[4:5]
	v_add_f64 v[4:5], v[6:7], v[134:135]
	v_add_f64 v[12:13], v[166:167], -v[170:171]
	v_add_f64 v[54:55], v[4:5], v[146:147]
	v_add_f64 v[4:5], v[134:135], v[146:147]
	v_fma_f64 v[4:5], v[4:5], -0.5, v[6:7]
	v_add_f64 v[6:7], v[132:133], -v[144:145]
	v_fma_f64 v[58:59], v[6:7], s[4:5], v[4:5]
	v_fma_f64 v[62:63], v[6:7], s[0:1], v[4:5]
	s_waitcnt vmcnt(0)
	ds_write_b128 v16, v[52:55]
	ds_write_b128 v16, v[56:59] offset:1536
	ds_write_b128 v16, v[60:63] offset:3072
	buffer_load_dword v16, off, s[28:31], 0 offset:340 ; 4-byte Folded Reload
	v_add_f64 v[4:5], v[0:1], v[156:157]
	v_add_f64 v[6:7], v[164:165], v[168:169]
	;; [unrolled: 1-line block ×4, first 2 shown]
	v_fma_f64 v[6:7], v[6:7], -0.5, v[8:9]
	v_fma_f64 v[0:1], v[4:5], -0.5, v[0:1]
	v_add_f64 v[4:5], v[158:159], -v[162:163]
	v_fma_f64 v[68:69], v[4:5], s[0:1], v[0:1]
	v_fma_f64 v[0:1], v[4:5], s[4:5], v[0:1]
	v_add_f64 v[4:5], v[2:3], v[158:159]
	v_add_f64 v[66:67], v[4:5], v[162:163]
	;; [unrolled: 1-line block ×3, first 2 shown]
	v_fma_f64 v[2:3], v[4:5], -0.5, v[2:3]
	v_add_f64 v[4:5], v[156:157], -v[160:161]
	v_fma_f64 v[70:71], v[4:5], s[4:5], v[2:3]
	v_fma_f64 v[2:3], v[4:5], s[0:1], v[2:3]
	s_waitcnt vmcnt(0)
	ds_write_b128 v16, v[64:67]
	ds_write_b128 v16, v[68:71] offset:1536
	ds_write_b128 v16, v[0:3] offset:3072
	buffer_load_dword v16, off, s[28:31], 0 offset:344 ; 4-byte Folded Reload
	v_add_f64 v[4:5], v[8:9], v[164:165]
	v_fma_f64 v[8:9], v[12:13], s[0:1], v[6:7]
	v_fma_f64 v[12:13], v[12:13], s[4:5], v[6:7]
	v_add_f64 v[6:7], v[10:11], v[166:167]
	v_fma_f64 v[10:11], v[72:73], s[4:5], v[14:15]
	v_fma_f64 v[14:15], v[72:73], s[0:1], v[14:15]
	v_add_f64 v[4:5], v[4:5], v[168:169]
	v_add_f64 v[6:7], v[6:7], v[170:171]
	s_waitcnt vmcnt(0)
	ds_write_b128 v16, v[4:7]
	ds_write_b128 v16, v[8:11] offset:1536
	ds_write_b128 v16, v[12:15] offset:3072
	s_waitcnt lgkmcnt(0)
	s_barrier
	buffer_gl0_inv
	ds_read_b128 v[20:23], v92
	ds_read_b128 v[156:159], v92 offset:4608
	ds_read_b128 v[144:147], v92 offset:9216
	;; [unrolled: 1-line block ×13, first 2 shown]
	s_and_saveexec_b32 s0, vcc_lo
	s_cbranch_execz .LBB0_7
; %bb.6:
	ds_read_b128 v[0:3], v92 offset:3584
	ds_read_b128 v[4:7], v92 offset:8192
	;; [unrolled: 1-line block ×7, first 2 shown]
.LBB0_7:
	s_or_b32 exec_lo, exec_lo, s0
	s_clause 0x7
	buffer_load_dword v112, off, s[28:31], 0 offset:320
	buffer_load_dword v113, off, s[28:31], 0 offset:324
	;; [unrolled: 1-line block ×8, first 2 shown]
	s_waitcnt lgkmcnt(12)
	v_mul_f64 v[52:53], v[106:107], v[158:159]
	v_mul_f64 v[54:55], v[106:107], v[156:157]
	s_waitcnt lgkmcnt(11)
	v_mul_f64 v[56:57], v[110:111], v[146:147]
	v_mul_f64 v[58:59], v[110:111], v[144:145]
	;; [unrolled: 3-line block ×3, first 2 shown]
	v_mul_f64 v[64:65], v[138:139], v[134:135]
	v_mul_f64 v[66:67], v[138:139], v[132:133]
	s_waitcnt lgkmcnt(5)
	v_mul_f64 v[76:77], v[90:91], v[38:39]
	v_mul_f64 v[78:79], v[90:91], v[36:37]
	s_waitcnt lgkmcnt(4)
	;; [unrolled: 3-line block ×3, first 2 shown]
	v_mul_f64 v[106:107], v[150:151], v[40:41]
	s_waitcnt lgkmcnt(0)
	v_mul_f64 v[110:111], v[154:155], v[44:45]
	v_mul_f64 v[84:85], v[122:123], v[26:27]
	;; [unrolled: 1-line block ×4, first 2 shown]
	s_mov_b32 s0, 0x36b3c0b5
	s_mov_b32 s1, 0x3fac98ee
	;; [unrolled: 1-line block ×5, first 2 shown]
	v_fma_f64 v[52:53], v[104:105], v[156:157], v[52:53]
	v_fma_f64 v[54:55], v[104:105], v[158:159], -v[54:55]
	v_fma_f64 v[56:57], v[108:109], v[144:145], v[56:57]
	v_fma_f64 v[58:59], v[108:109], v[146:147], -v[58:59]
	;; [unrolled: 2-line block ×4, first 2 shown]
	v_mul_f64 v[104:105], v[150:151], v[42:43]
	v_mul_f64 v[108:109], v[154:155], v[46:47]
	v_fma_f64 v[36:37], v[88:89], v[36:37], v[76:77]
	v_fma_f64 v[38:39], v[88:89], v[38:39], -v[78:79]
	v_fma_f64 v[32:33], v[124:125], v[32:33], v[80:81]
	v_fma_f64 v[46:47], v[152:153], v[46:47], -v[110:111]
	v_fma_f64 v[34:35], v[124:125], v[34:35], -v[82:83]
	;; [unrolled: 1-line block ×3, first 2 shown]
	v_fma_f64 v[24:25], v[120:121], v[24:25], v[84:85]
	v_fma_f64 v[26:27], v[120:121], v[26:27], -v[86:87]
	s_mov_b32 s14, 0x5476071b
	s_mov_b32 s13, 0xbff2aaaa
	s_mov_b32 s15, 0x3fe77f67
	s_mov_b32 s19, 0xbfe77f67
	s_mov_b32 s18, s14
	s_mov_b32 s4, 0x429ad128
	s_mov_b32 s5, 0xbfebfeb5
	s_mov_b32 s20, 0xb247c609
	s_mov_b32 s21, 0xbfd5d0dc
	s_mov_b32 s23, 0x3fd5d0dc
	s_mov_b32 s22, s20
	s_mov_b32 s24, 0x37c3f68c
	v_fma_f64 v[40:41], v[148:149], v[40:41], v[104:105]
	v_fma_f64 v[44:45], v[152:153], v[44:45], v[108:109]
	s_mov_b32 s25, 0xbfdc38aa
	s_waitcnt vmcnt(4)
	v_mul_f64 v[68:69], v[114:115], v[130:131]
	v_mul_f64 v[70:71], v[114:115], v[128:129]
	s_waitcnt vmcnt(0)
	v_mul_f64 v[72:73], v[102:103], v[50:51]
	v_mul_f64 v[74:75], v[102:103], v[48:49]
	v_add_f64 v[114:115], v[58:59], v[66:67]
	v_mul_f64 v[102:103], v[118:119], v[28:29]
	v_fma_f64 v[28:29], v[116:117], v[28:29], v[94:95]
	v_add_f64 v[58:59], v[58:59], -v[66:67]
	v_fma_f64 v[68:69], v[112:113], v[128:129], v[68:69]
	v_fma_f64 v[70:71], v[112:113], v[130:131], -v[70:71]
	v_fma_f64 v[48:49], v[100:101], v[48:49], v[72:73]
	v_fma_f64 v[50:51], v[100:101], v[50:51], -v[74:75]
	v_add_f64 v[72:73], v[52:53], v[60:61]
	v_add_f64 v[74:75], v[54:55], v[62:63]
	;; [unrolled: 1-line block ×3, first 2 shown]
	v_fma_f64 v[30:31], v[116:117], v[30:31], -v[102:103]
	v_add_f64 v[56:57], v[56:57], -v[64:65]
	v_add_f64 v[52:53], v[52:53], -v[60:61]
	;; [unrolled: 1-line block ×3, first 2 shown]
	v_add_f64 v[60:61], v[36:37], v[44:45]
	v_add_f64 v[62:63], v[38:39], v[46:47]
	v_add_f64 v[36:37], v[36:37], -v[44:45]
	v_add_f64 v[38:39], v[38:39], -v[46:47]
	v_add_f64 v[44:45], v[32:33], v[40:41]
	v_add_f64 v[46:47], v[34:35], v[42:43]
	v_add_f64 v[32:33], v[32:33], -v[40:41]
	v_add_f64 v[34:35], v[34:35], -v[42:43]
	v_add_f64 v[42:43], v[24:25], v[28:29]
	v_add_f64 v[24:25], v[28:29], -v[24:25]
	v_add_f64 v[76:77], v[68:69], v[48:49]
	v_add_f64 v[78:79], v[70:71], v[50:51]
	v_add_f64 v[48:49], v[48:49], -v[68:69]
	v_add_f64 v[82:83], v[114:115], v[74:75]
	;; [unrolled: 3-line block ×3, first 2 shown]
	v_add_f64 v[86:87], v[46:47], v[62:63]
	v_add_f64 v[102:103], v[60:61], -v[42:43]
	v_add_f64 v[106:107], v[42:43], -v[44:45]
	;; [unrolled: 1-line block ×8, first 2 shown]
	v_add_f64 v[40:41], v[76:77], v[80:81]
	v_add_f64 v[76:77], v[78:79], v[82:83]
	;; [unrolled: 1-line block ×3, first 2 shown]
	v_add_f64 v[26:27], v[30:31], -v[26:27]
	v_add_f64 v[28:29], v[48:49], -v[56:57]
	;; [unrolled: 1-line block ×4, first 2 shown]
	v_add_f64 v[80:81], v[48:49], v[56:57]
	v_add_f64 v[82:83], v[50:51], v[58:59]
	v_add_f64 v[56:57], v[56:57], -v[52:53]
	v_add_f64 v[58:59], v[58:59], -v[54:55]
	;; [unrolled: 1-line block ×4, first 2 shown]
	v_add_f64 v[42:43], v[42:43], v[84:85]
	v_add_f64 v[50:51], v[54:55], -v[50:51]
	v_mul_f64 v[110:111], v[110:111], s[16:17]
	v_mul_f64 v[64:65], v[64:65], s[6:7]
	v_mul_f64 v[94:95], v[68:69], s[0:1]
	v_mul_f64 v[66:67], v[66:67], s[6:7]
	v_mul_f64 v[100:101], v[70:71], s[0:1]
	v_add_f64 v[20:21], v[20:21], v[40:41]
	v_add_f64 v[22:23], v[22:23], v[76:77]
	v_add_f64 v[104:105], v[62:63], -v[78:79]
	v_add_f64 v[108:109], v[78:79], -v[46:47]
	v_mul_f64 v[28:29], v[28:29], s[16:17]
	v_add_f64 v[112:113], v[26:27], -v[34:35]
	v_add_f64 v[78:79], v[78:79], v[86:87]
	v_mul_f64 v[30:31], v[30:31], s[16:17]
	v_add_f64 v[52:53], v[80:81], v[52:53]
	v_add_f64 v[54:55], v[82:83], v[54:55]
	v_mul_f64 v[80:81], v[56:57], s[4:5]
	v_mul_f64 v[82:83], v[58:59], s[4:5]
	v_add_f64 v[46:47], v[46:47], -v[62:63]
	v_add_f64 v[16:17], v[16:17], v[42:43]
	v_mul_f64 v[62:63], v[106:107], s[0:1]
	v_fma_f64 v[68:69], v[68:69], s[0:1], v[64:65]
	v_fma_f64 v[84:85], v[72:73], s[14:15], -v[94:95]
	v_fma_f64 v[64:65], v[72:73], s[18:19], -v[64:65]
	v_add_f64 v[94:95], v[34:35], -v[38:39]
	v_fma_f64 v[70:71], v[70:71], s[0:1], v[66:67]
	v_fma_f64 v[72:73], v[76:77], s[12:13], v[22:23]
	v_add_f64 v[76:77], v[32:33], -v[36:37]
	v_fma_f64 v[86:87], v[74:75], s[14:15], -v[100:101]
	v_fma_f64 v[66:67], v[74:75], s[18:19], -v[66:67]
	v_fma_f64 v[74:75], v[48:49], s[20:21], v[28:29]
	v_fma_f64 v[28:29], v[56:57], s[4:5], -v[28:29]
	v_add_f64 v[32:33], v[24:25], v[32:33]
	v_add_f64 v[34:35], v[26:27], v[34:35]
	;; [unrolled: 1-line block ×3, first 2 shown]
	v_mul_f64 v[56:57], v[102:103], s[6:7]
	v_mul_f64 v[60:61], v[104:105], s[6:7]
	;; [unrolled: 1-line block ×3, first 2 shown]
	v_add_f64 v[24:25], v[36:37], -v[24:25]
	v_add_f64 v[26:27], v[38:39], -v[26:27]
	v_mul_f64 v[104:105], v[112:113], s[16:17]
	v_fma_f64 v[40:41], v[40:41], s[12:13], v[20:21]
	v_fma_f64 v[100:101], v[50:51], s[20:21], v[30:31]
	v_fma_f64 v[48:49], v[48:49], s[22:23], -v[80:81]
	v_fma_f64 v[50:51], v[50:51], s[22:23], -v[82:83]
	;; [unrolled: 1-line block ×3, first 2 shown]
	v_mul_f64 v[112:113], v[94:95], s[4:5]
	v_fma_f64 v[62:63], v[44:45], s[14:15], -v[62:63]
	v_mul_f64 v[114:115], v[76:77], s[4:5]
	v_fma_f64 v[76:77], v[76:77], s[4:5], -v[110:111]
	v_add_f64 v[80:81], v[86:87], v[72:73]
	v_add_f64 v[32:33], v[32:33], v[36:37]
	;; [unrolled: 1-line block ×3, first 2 shown]
	v_fma_f64 v[36:37], v[42:43], s[12:13], v[16:17]
	v_fma_f64 v[38:39], v[78:79], s[12:13], v[18:19]
	;; [unrolled: 1-line block ×4, first 2 shown]
	v_fma_f64 v[82:83], v[46:47], s[14:15], -v[102:103]
	v_fma_f64 v[44:45], v[44:45], s[18:19], -v[56:57]
	;; [unrolled: 1-line block ×3, first 2 shown]
	v_fma_f64 v[56:57], v[26:27], s[20:21], v[104:105]
	v_fma_f64 v[60:61], v[24:25], s[20:21], v[110:111]
	v_add_f64 v[58:59], v[68:69], v[40:41]
	v_add_f64 v[68:69], v[70:71], v[72:73]
	;; [unrolled: 1-line block ×3, first 2 shown]
	v_fma_f64 v[26:27], v[26:27], s[22:23], -v[112:113]
	v_fma_f64 v[84:85], v[94:95], s[4:5], -v[104:105]
	v_add_f64 v[40:41], v[64:65], v[40:41]
	v_fma_f64 v[24:25], v[24:25], s[22:23], -v[114:115]
	v_add_f64 v[64:65], v[66:67], v[72:73]
	v_fma_f64 v[66:67], v[54:55], s[24:25], v[100:101]
	v_fma_f64 v[72:73], v[52:53], s[24:25], v[74:75]
	;; [unrolled: 1-line block ×6, first 2 shown]
	v_add_f64 v[62:63], v[62:63], v[36:37]
	v_add_f64 v[74:75], v[42:43], v[36:37]
	;; [unrolled: 1-line block ×6, first 2 shown]
	v_fma_f64 v[100:101], v[34:35], s[24:25], v[56:57]
	v_fma_f64 v[102:103], v[32:33], s[24:25], v[60:61]
	;; [unrolled: 1-line block ×6, first 2 shown]
	v_add_f64 v[24:25], v[66:67], v[58:59]
	v_add_f64 v[26:27], v[68:69], -v[72:73]
	v_add_f64 v[28:29], v[50:51], v[40:41]
	v_add_f64 v[30:31], v[64:65], -v[48:49]
	v_add_f64 v[32:33], v[70:71], -v[54:55]
	v_add_f64 v[34:35], v[52:53], v[80:81]
	v_add_f64 v[36:37], v[54:55], v[70:71]
	v_add_f64 v[38:39], v[80:81], -v[52:53]
	v_add_f64 v[40:41], v[40:41], -v[50:51]
	v_add_f64 v[42:43], v[48:49], v[64:65]
	v_add_f64 v[44:45], v[58:59], -v[66:67]
	v_add_f64 v[46:47], v[72:73], v[68:69]
	v_add_f64 v[48:49], v[100:101], v[74:75]
	v_add_f64 v[50:51], v[78:79], -v[102:103]
	v_add_f64 v[58:59], v[76:77], v[82:83]
	v_add_f64 v[68:69], v[74:75], -v[100:101]
	v_add_f64 v[70:71], v[102:103], v[78:79]
	v_add_f64 v[52:53], v[104:105], v[86:87]
	v_add_f64 v[56:57], v[62:63], -v[60:61]
	v_add_f64 v[60:61], v[60:61], v[62:63]
	v_add_f64 v[54:55], v[94:95], -v[106:107]
	v_add_f64 v[62:63], v[82:83], -v[76:77]
	;; [unrolled: 1-line block ×3, first 2 shown]
	v_add_f64 v[66:67], v[106:107], v[94:95]
	ds_write_b128 v92, v[20:23]
	ds_write_b128 v93, v[24:27] offset:4608
	ds_write_b128 v93, v[28:31] offset:9216
	;; [unrolled: 1-line block ×13, first 2 shown]
	s_and_saveexec_b32 s26, vcc_lo
	s_cbranch_execz .LBB0_9
; %bb.8:
	s_clause 0x13
	buffer_load_dword v48, off, s[28:31], 0 offset:608
	buffer_load_dword v49, off, s[28:31], 0 offset:612
	buffer_load_dword v50, off, s[28:31], 0 offset:616
	buffer_load_dword v51, off, s[28:31], 0 offset:620
	buffer_load_dword v56, off, s[28:31], 0 offset:640
	buffer_load_dword v57, off, s[28:31], 0 offset:644
	buffer_load_dword v58, off, s[28:31], 0 offset:648
	buffer_load_dword v59, off, s[28:31], 0 offset:652
	buffer_load_dword v52, off, s[28:31], 0 offset:624
	buffer_load_dword v53, off, s[28:31], 0 offset:628
	buffer_load_dword v54, off, s[28:31], 0 offset:632
	buffer_load_dword v55, off, s[28:31], 0 offset:636
	buffer_load_dword v40, off, s[28:31], 0 offset:576
	buffer_load_dword v41, off, s[28:31], 0 offset:580
	buffer_load_dword v42, off, s[28:31], 0 offset:584
	buffer_load_dword v43, off, s[28:31], 0 offset:588
	buffer_load_dword v44, off, s[28:31], 0 offset:592
	buffer_load_dword v45, off, s[28:31], 0 offset:596
	buffer_load_dword v46, off, s[28:31], 0 offset:600
	buffer_load_dword v47, off, s[28:31], 0 offset:604
	v_mul_f64 v[16:17], v[98:99], v[244:245]
	v_mul_f64 v[26:27], v[98:99], v[246:247]
	v_fma_f64 v[16:17], v[96:97], v[246:247], -v[16:17]
	s_waitcnt vmcnt(16)
	v_mul_f64 v[18:19], v[50:51], v[4:5]
	s_waitcnt vmcnt(12)
	v_mul_f64 v[20:21], v[58:59], v[240:241]
	;; [unrolled: 2-line block ×3, first 2 shown]
	v_mul_f64 v[24:25], v[50:51], v[6:7]
	v_mul_f64 v[28:29], v[54:55], v[10:11]
	;; [unrolled: 1-line block ×3, first 2 shown]
	s_waitcnt vmcnt(4)
	v_mul_f64 v[32:33], v[42:43], v[238:239]
	s_waitcnt vmcnt(0)
	v_mul_f64 v[34:35], v[46:47], v[14:15]
	v_mul_f64 v[36:37], v[46:47], v[12:13]
	;; [unrolled: 1-line block ×3, first 2 shown]
	v_fma_f64 v[6:7], v[48:49], v[6:7], -v[18:19]
	v_fma_f64 v[18:19], v[56:57], v[242:243], -v[20:21]
	;; [unrolled: 1-line block ×3, first 2 shown]
	v_fma_f64 v[4:5], v[48:49], v[4:5], v[24:25]
	v_fma_f64 v[20:21], v[96:97], v[244:245], v[26:27]
	;; [unrolled: 1-line block ×6, first 2 shown]
	v_fma_f64 v[14:15], v[44:45], v[14:15], -v[36:37]
	v_fma_f64 v[26:27], v[40:41], v[238:239], -v[38:39]
	v_add_f64 v[28:29], v[6:7], v[16:17]
	v_add_f64 v[6:7], v[6:7], -v[16:17]
	v_add_f64 v[30:31], v[10:11], v[18:19]
	v_add_f64 v[10:11], v[10:11], -v[18:19]
	;; [unrolled: 2-line block ×4, first 2 shown]
	v_add_f64 v[36:37], v[24:25], -v[12:13]
	v_add_f64 v[12:13], v[12:13], v[24:25]
	v_add_f64 v[22:23], v[14:15], v[26:27]
	v_add_f64 v[14:15], v[26:27], -v[14:15]
	v_add_f64 v[20:21], v[30:31], v[28:29]
	v_add_f64 v[42:43], v[10:11], -v[6:7]
	;; [unrolled: 2-line block ×3, first 2 shown]
	v_add_f64 v[18:19], v[36:37], -v[8:9]
	v_add_f64 v[26:27], v[32:33], -v[12:13]
	;; [unrolled: 1-line block ×5, first 2 shown]
	v_add_f64 v[8:9], v[36:37], v[8:9]
	v_add_f64 v[10:11], v[14:15], v[10:11]
	v_add_f64 v[14:15], v[6:7], -v[14:15]
	v_add_f64 v[28:29], v[30:31], -v[28:29]
	;; [unrolled: 1-line block ×3, first 2 shown]
	v_add_f64 v[20:21], v[22:23], v[20:21]
	v_add_f64 v[22:23], v[22:23], -v[30:31]
	v_mul_f64 v[46:47], v[42:43], s[4:5]
	v_add_f64 v[16:17], v[12:13], v[16:17]
	v_add_f64 v[12:13], v[12:13], -v[34:35]
	v_mul_f64 v[18:19], v[18:19], s[16:17]
	v_mul_f64 v[26:27], v[26:27], s[6:7]
	;; [unrolled: 1-line block ×5, first 2 shown]
	v_add_f64 v[4:5], v[8:9], v[4:5]
	v_add_f64 v[6:7], v[10:11], v[6:7]
	;; [unrolled: 1-line block ×3, first 2 shown]
	v_mul_f64 v[30:31], v[22:23], s[0:1]
	v_add_f64 v[0:1], v[0:1], v[16:17]
	v_mul_f64 v[34:35], v[12:13], s[0:1]
	v_fma_f64 v[8:9], v[44:45], s[20:21], v[18:19]
	v_fma_f64 v[12:13], v[12:13], s[0:1], v[26:27]
	;; [unrolled: 1-line block ×3, first 2 shown]
	v_fma_f64 v[22:23], v[44:45], s[22:23], -v[36:37]
	v_fma_f64 v[18:19], v[38:39], s[4:5], -v[18:19]
	v_fma_f64 v[24:25], v[28:29], s[18:19], -v[24:25]
	v_fma_f64 v[26:27], v[32:33], s[18:19], -v[26:27]
	v_fma_f64 v[36:37], v[42:43], s[4:5], -v[40:41]
	v_fma_f64 v[20:21], v[20:21], s[12:13], v[2:3]
	v_fma_f64 v[28:29], v[28:29], s[14:15], -v[30:31]
	v_fma_f64 v[30:31], v[14:15], s[20:21], v[40:41]
	v_fma_f64 v[14:15], v[14:15], s[22:23], -v[46:47]
	;; [unrolled: 2-line block ×3, first 2 shown]
	v_fma_f64 v[8:9], v[4:5], s[24:25], v[8:9]
	v_fma_f64 v[22:23], v[4:5], s[24:25], v[22:23]
	;; [unrolled: 1-line block ×4, first 2 shown]
	v_add_f64 v[34:35], v[10:11], v[20:21]
	v_add_f64 v[24:25], v[24:25], v[20:21]
	;; [unrolled: 1-line block ×3, first 2 shown]
	v_fma_f64 v[28:29], v[6:7], s[24:25], v[30:31]
	v_add_f64 v[38:39], v[12:13], v[16:17]
	v_fma_f64 v[30:31], v[6:7], s[24:25], v[14:15]
	v_add_f64 v[40:41], v[26:27], v[16:17]
	v_add_f64 v[12:13], v[32:33], v[16:17]
	v_add_f64 v[26:27], v[34:35], -v[8:9]
	v_add_f64 v[10:11], v[22:23], v[24:25]
	v_add_f64 v[22:23], v[24:25], -v[22:23]
	v_add_f64 v[14:15], v[18:19], -v[4:5]
	v_add_f64 v[24:25], v[28:29], v[38:39]
	v_add_f64 v[18:19], v[4:5], v[18:19]
	;; [unrolled: 1-line block ×3, first 2 shown]
	v_add_f64 v[16:17], v[12:13], -v[36:37]
	v_add_f64 v[12:13], v[36:37], v[12:13]
	v_add_f64 v[6:7], v[8:9], v[34:35]
	v_add_f64 v[8:9], v[40:41], -v[30:31]
	v_add_f64 v[4:5], v[38:39], -v[28:29]
	ds_write_b128 v92, v[0:3] offset:3584
	ds_write_b128 v93, v[24:27] offset:8192
	;; [unrolled: 1-line block ×7, first 2 shown]
.LBB0_9:
	s_or_b32 exec_lo, exec_lo, s26
	s_waitcnt lgkmcnt(0)
	s_barrier
	buffer_gl0_inv
	ds_read_b128 v[0:3], v92
	s_clause 0x1
	buffer_load_dword v4, off, s[28:31], 0
	buffer_load_dword v5, off, s[28:31], 0 offset:4
	v_mad_u64_u32 v[46:47], null, s8, v248, 0
	s_mov_b32 s0, 0x10410410
	s_mov_b32 s1, 0x3f404104
	s_mul_i32 s6, s9, 0x3f00
	s_mul_hi_u32 s7, s8, 0x3f00
	s_mul_i32 s4, s8, 0x3f00
	s_add_i32 s7, s7, s6
	s_mul_hi_u32 s12, s8, 0xffffc800
	s_mul_i32 s5, s8, 0xffffc800
	s_sub_i32 s6, s12, s8
	ds_read_b128 v[8:11], v92 offset:1792
	s_waitcnt vmcnt(1)
	v_mov_b32_e32 v60, v4
	s_waitcnt vmcnt(0)
	ds_read_b128 v[4:7], v92 offset:16128
	s_clause 0x3
	buffer_load_dword v61, off, s[28:31], 0 offset:48
	buffer_load_dword v62, off, s[28:31], 0 offset:52
	;; [unrolled: 1-line block ×4, first 2 shown]
	ds_read_b128 v[12:15], v92 offset:17920
	ds_read_b128 v[16:19], v92 offset:19712
	;; [unrolled: 1-line block ×8, first 2 shown]
	s_clause 0x7
	buffer_load_dword v74, off, s[28:31], 0 offset:80
	buffer_load_dword v75, off, s[28:31], 0 offset:84
	;; [unrolled: 1-line block ×8, first 2 shown]
	v_mad_u64_u32 v[44:45], null, s10, v60, 0
	s_mul_i32 s10, s9, 0xffffc800
	s_add_i32 s6, s6, s10
	s_waitcnt vmcnt(8) lgkmcnt(10)
	v_mul_f64 v[48:49], v[63:64], v[2:3]
	v_mul_f64 v[50:51], v[63:64], v[0:1]
	s_waitcnt vmcnt(4) lgkmcnt(8)
	v_mul_f64 v[52:53], v[76:77], v[6:7]
	v_mul_f64 v[54:55], v[76:77], v[4:5]
	s_clause 0x3
	buffer_load_dword v76, off, s[28:31], 0 offset:96
	buffer_load_dword v77, off, s[28:31], 0 offset:100
	;; [unrolled: 1-line block ×4, first 2 shown]
	s_waitcnt vmcnt(4)
	v_mul_f64 v[56:57], v[72:73], v[10:11]
	v_mul_f64 v[58:59], v[72:73], v[8:9]
	v_fma_f64 v[0:1], v[61:62], v[0:1], v[48:49]
	v_mad_u64_u32 v[48:49], null, s11, v60, v[45:46]
	v_fma_f64 v[2:3], v[61:62], v[2:3], -v[50:51]
	v_fma_f64 v[4:5], v[74:75], v[4:5], v[52:53]
	v_fma_f64 v[8:9], v[70:71], v[8:9], v[56:57]
	v_fma_f64 v[10:11], v[70:71], v[10:11], -v[58:59]
	v_fma_f64 v[6:7], v[74:75], v[6:7], -v[54:55]
	v_mad_u64_u32 v[49:50], null, s9, v248, v[47:48]
	v_mov_b32_e32 v45, v48
	v_lshlrev_b64 v[44:45], 4, v[44:45]
	v_mov_b32_e32 v47, v49
	v_mul_f64 v[0:1], v[0:1], s[0:1]
	v_lshlrev_b64 v[46:47], 4, v[46:47]
	v_add_co_u32 v70, vcc_lo, s2, v44
	v_mul_f64 v[2:3], v[2:3], s[0:1]
	v_add_co_ci_u32_e32 v71, vcc_lo, s3, v45, vcc_lo
	v_add_co_u32 v44, vcc_lo, v70, v46
	v_mul_f64 v[4:5], v[4:5], s[0:1]
	v_add_co_ci_u32_e32 v45, vcc_lo, v71, v47, vcc_lo
	v_mul_f64 v[6:7], v[6:7], s[0:1]
	v_mul_f64 v[8:9], v[8:9], s[0:1]
	;; [unrolled: 1-line block ×3, first 2 shown]
	s_waitcnt vmcnt(0) lgkmcnt(7)
	v_mul_f64 v[50:51], v[78:79], v[14:15]
	v_mul_f64 v[60:61], v[78:79], v[12:13]
	s_clause 0x7
	buffer_load_dword v78, off, s[28:31], 0 offset:128
	buffer_load_dword v79, off, s[28:31], 0 offset:132
	;; [unrolled: 1-line block ×8, first 2 shown]
	v_fma_f64 v[12:13], v[76:77], v[12:13], v[50:51]
	v_fma_f64 v[14:15], v[76:77], v[14:15], -v[60:61]
	v_add_co_u32 v50, vcc_lo, v44, s4
	v_add_co_ci_u32_e32 v51, vcc_lo, s7, v45, vcc_lo
	s_waitcnt vmcnt(4) lgkmcnt(5)
	v_mul_f64 v[64:65], v[80:81], v[20:21]
	v_mul_f64 v[62:63], v[80:81], v[22:23]
	s_waitcnt vmcnt(0)
	v_mul_f64 v[66:67], v[86:87], v[16:17]
	s_clause 0x3
	buffer_load_dword v80, off, s[28:31], 0 offset:160
	buffer_load_dword v81, off, s[28:31], 0 offset:164
	;; [unrolled: 1-line block ×4, first 2 shown]
	global_store_dwordx4 v[44:45], v[0:3], off
	v_mul_f64 v[2:3], v[14:15], s[0:1]
	v_mul_f64 v[48:49], v[86:87], v[18:19]
	;; [unrolled: 1-line block ×3, first 2 shown]
	v_add_co_u32 v44, vcc_lo, v50, s5
	v_add_co_ci_u32_e32 v45, vcc_lo, s6, v51, vcc_lo
	v_add_co_u32 v54, vcc_lo, v44, s4
	v_add_co_ci_u32_e32 v55, vcc_lo, s7, v45, vcc_lo
	v_fma_f64 v[22:23], v[78:79], v[22:23], -v[64:65]
	v_fma_f64 v[20:21], v[78:79], v[20:21], v[62:63]
	v_add_co_u32 v62, vcc_lo, v54, s5
	v_add_co_ci_u32_e32 v63, vcc_lo, s6, v55, vcc_lo
	v_mul_f64 v[14:15], v[22:23], s[0:1]
	v_fma_f64 v[22:23], v[84:85], v[18:19], -v[66:67]
	s_clause 0x3
	buffer_load_dword v64, off, s[28:31], 0 offset:144
	buffer_load_dword v65, off, s[28:31], 0 offset:148
	;; [unrolled: 1-line block ×4, first 2 shown]
	v_mul_f64 v[12:13], v[20:21], s[0:1]
	v_fma_f64 v[20:21], v[84:85], v[16:17], v[48:49]
	ds_read_b128 v[16:19], v92 offset:8960
	s_waitcnt vmcnt(4) lgkmcnt(5)
	v_mul_f64 v[68:69], v[82:83], v[26:27]
	v_mul_f64 v[46:47], v[82:83], v[24:25]
	v_fma_f64 v[24:25], v[80:81], v[24:25], v[68:69]
	v_fma_f64 v[26:27], v[80:81], v[26:27], -v[46:47]
	s_waitcnt vmcnt(0) lgkmcnt(3)
	v_mul_f64 v[48:49], v[66:67], v[34:35]
	v_mul_f64 v[52:53], v[66:67], v[32:33]
	s_clause 0x7
	buffer_load_dword v66, off, s[28:31], 0 offset:176
	buffer_load_dword v67, off, s[28:31], 0 offset:180
	buffer_load_dword v68, off, s[28:31], 0 offset:184
	buffer_load_dword v69, off, s[28:31], 0 offset:188
	buffer_load_dword v72, off, s[28:31], 0 offset:208
	buffer_load_dword v73, off, s[28:31], 0 offset:212
	buffer_load_dword v74, off, s[28:31], 0 offset:216
	buffer_load_dword v75, off, s[28:31], 0 offset:220
	global_store_dwordx4 v[50:51], v[4:7], off
	global_store_dwordx4 v[44:45], v[8:11], off
	;; [unrolled: 1-line block ×4, first 2 shown]
	ds_read_b128 v[0:3], v92 offset:25088
	ds_read_b128 v[8:11], v92 offset:10752
	v_mul_f64 v[4:5], v[20:21], s[0:1]
	v_mul_f64 v[6:7], v[22:23], s[0:1]
	;; [unrolled: 1-line block ×4, first 2 shown]
	v_add_co_u32 v44, vcc_lo, v62, s4
	v_add_co_ci_u32_e32 v45, vcc_lo, s7, v63, vcc_lo
	v_add_co_u32 v62, vcc_lo, v44, s5
	v_add_co_ci_u32_e32 v63, vcc_lo, s6, v45, vcc_lo
	v_fma_f64 v[32:33], v[64:65], v[32:33], v[48:49]
	v_fma_f64 v[34:35], v[64:65], v[34:35], -v[52:53]
	v_add_co_u32 v64, vcc_lo, v62, s4
	v_add_co_ci_u32_e32 v65, vcc_lo, s7, v63, vcc_lo
	s_waitcnt vmcnt(4)
	v_mul_f64 v[46:47], v[68:69], v[30:31]
	v_mul_f64 v[56:57], v[68:69], v[28:29]
	s_waitcnt vmcnt(0) lgkmcnt(4)
	v_mul_f64 v[58:59], v[74:75], v[38:39]
	v_mul_f64 v[60:61], v[74:75], v[36:37]
	v_fma_f64 v[46:47], v[66:67], v[28:29], v[46:47]
	v_fma_f64 v[48:49], v[66:67], v[30:31], -v[56:57]
	v_fma_f64 v[36:37], v[72:73], v[36:37], v[58:59]
	v_fma_f64 v[38:39], v[72:73], v[38:39], -v[60:61]
	s_clause 0x3
	buffer_load_dword v66, off, s[28:31], 0 offset:256
	buffer_load_dword v67, off, s[28:31], 0 offset:260
	;; [unrolled: 1-line block ×4, first 2 shown]
	ds_read_b128 v[20:23], v92 offset:26880
	s_clause 0x3
	buffer_load_dword v72, off, s[28:31], 0 offset:272
	buffer_load_dword v73, off, s[28:31], 0 offset:276
	;; [unrolled: 1-line block ×4, first 2 shown]
	ds_read_b128 v[24:27], v92 offset:12544
	v_mul_f64 v[30:31], v[34:35], s[0:1]
	v_mul_f64 v[28:29], v[32:33], s[0:1]
	;; [unrolled: 1-line block ×6, first 2 shown]
	s_waitcnt vmcnt(4) lgkmcnt(4)
	v_mul_f64 v[50:51], v[68:69], v[18:19]
	v_mul_f64 v[52:53], v[68:69], v[16:17]
	s_waitcnt vmcnt(0) lgkmcnt(3)
	v_mul_f64 v[54:55], v[74:75], v[2:3]
	v_mul_f64 v[56:57], v[74:75], v[0:1]
	s_clause 0x3
	buffer_load_dword v74, off, s[28:31], 0 offset:288
	buffer_load_dword v75, off, s[28:31], 0 offset:292
	;; [unrolled: 1-line block ×4, first 2 shown]
	global_store_dwordx4 v[44:45], v[4:7], off
	v_add_co_u32 v4, vcc_lo, v64, s5
	v_add_co_ci_u32_e32 v5, vcc_lo, s6, v65, vcc_lo
	v_fma_f64 v[16:17], v[66:67], v[16:17], v[50:51]
	v_fma_f64 v[18:19], v[66:67], v[18:19], -v[52:53]
	v_fma_f64 v[44:45], v[72:73], v[0:1], v[54:55]
	v_fma_f64 v[46:47], v[72:73], v[2:3], -v[56:57]
	v_add_co_u32 v56, vcc_lo, v4, s4
	v_add_co_ci_u32_e32 v57, vcc_lo, s7, v5, vcc_lo
	v_mul_f64 v[6:7], v[18:19], s[0:1]
	s_waitcnt vmcnt(0) lgkmcnt(2)
	v_mul_f64 v[58:59], v[76:77], v[10:11]
	v_mul_f64 v[60:61], v[76:77], v[8:9]
	v_fma_f64 v[48:49], v[74:75], v[8:9], v[58:59]
	v_fma_f64 v[50:51], v[74:75], v[10:11], -v[60:61]
	s_clause 0x3
	buffer_load_dword v58, off, s[28:31], 0 offset:240
	buffer_load_dword v59, off, s[28:31], 0 offset:244
	;; [unrolled: 1-line block ×4, first 2 shown]
	ds_read_b128 v[0:3], v92 offset:28672
	global_store_dwordx4 v[62:63], v[12:15], off
	global_store_dwordx4 v[64:65], v[28:31], off
	;; [unrolled: 1-line block ×4, first 2 shown]
	v_add_co_u32 v28, vcc_lo, v56, s5
	ds_read_b128 v[8:11], v92 offset:30464
	v_add_co_ci_u32_e32 v29, vcc_lo, s6, v57, vcc_lo
	s_clause 0x3
	buffer_load_dword v63, off, s[28:31], 0 offset:224
	buffer_load_dword v64, off, s[28:31], 0 offset:228
	;; [unrolled: 1-line block ×4, first 2 shown]
	v_mul_f64 v[12:13], v[44:45], s[0:1]
	v_mul_f64 v[4:5], v[16:17], s[0:1]
	;; [unrolled: 1-line block ×3, first 2 shown]
	v_add_co_u32 v46, vcc_lo, v28, s4
	v_add_co_ci_u32_e32 v47, vcc_lo, s7, v29, vcc_lo
	v_mul_f64 v[16:17], v[48:49], s[0:1]
	v_mul_f64 v[18:19], v[50:51], s[0:1]
	s_waitcnt vmcnt(4) lgkmcnt(3)
	v_mul_f64 v[52:53], v[60:61], v[22:23]
	v_mul_f64 v[54:55], v[60:61], v[20:21]
	s_waitcnt vmcnt(0) lgkmcnt(2)
	v_mul_f64 v[30:31], v[65:66], v[26:27]
	v_mul_f64 v[32:33], v[65:66], v[24:25]
	v_fma_f64 v[20:21], v[58:59], v[20:21], v[52:53]
	v_fma_f64 v[22:23], v[58:59], v[22:23], -v[54:55]
	s_clause 0x3
	buffer_load_dword v55, off, s[28:31], 0 offset:16
	buffer_load_dword v56, off, s[28:31], 0 offset:20
	;; [unrolled: 1-line block ×4, first 2 shown]
	v_add_co_u32 v52, vcc_lo, v46, s5
	v_add_co_ci_u32_e32 v53, vcc_lo, s6, v47, vcc_lo
	v_fma_f64 v[24:25], v[63:64], v[24:25], v[30:31]
	v_fma_f64 v[26:27], v[63:64], v[26:27], -v[32:33]
	s_waitcnt vmcnt(0) lgkmcnt(1)
	v_mul_f64 v[34:35], v[57:58], v[2:3]
	v_mul_f64 v[36:37], v[57:58], v[0:1]
	s_clause 0x3
	buffer_load_dword v57, off, s[28:31], 0 offset:32
	buffer_load_dword v58, off, s[28:31], 0 offset:36
	;; [unrolled: 1-line block ×4, first 2 shown]
	s_waitcnt vmcnt(0)
	v_mul_f64 v[38:39], v[59:60], v[42:43]
	v_mul_f64 v[44:45], v[59:60], v[40:41]
	s_clause 0x4
	buffer_load_dword v59, off, s[28:31], 0 offset:112
	buffer_load_dword v60, off, s[28:31], 0 offset:116
	;; [unrolled: 1-line block ×5, first 2 shown]
	global_store_dwordx4 v[28:29], v[4:7], off
	global_store_dwordx4 v[46:47], v[12:15], off
	;; [unrolled: 1-line block ×3, first 2 shown]
	v_fma_f64 v[12:13], v[55:56], v[0:1], v[34:35]
	v_fma_f64 v[14:15], v[55:56], v[2:3], -v[36:37]
	v_mul_f64 v[4:5], v[20:21], s[0:1]
	v_mul_f64 v[6:7], v[22:23], s[0:1]
	v_add_co_u32 v34, vcc_lo, v52, s4
	v_add_co_ci_u32_e32 v35, vcc_lo, s7, v53, vcc_lo
	v_mul_f64 v[0:1], v[24:25], s[0:1]
	v_mul_f64 v[2:3], v[26:27], s[0:1]
	v_fma_f64 v[17:18], v[57:58], v[40:41], v[38:39]
	v_fma_f64 v[19:20], v[57:58], v[42:43], -v[44:45]
	global_store_dwordx4 v[34:35], v[4:7], off
	s_waitcnt vmcnt(1) lgkmcnt(0)
	v_mul_f64 v[48:49], v[61:62], v[10:11]
	s_waitcnt vmcnt(0)
	v_mad_u64_u32 v[30:31], null, s8, v54, 0
	v_mul_f64 v[50:51], v[61:62], v[8:9]
	v_mov_b32_e32 v16, v31
	buffer_load_dword v31, off, s[28:31], 0 offset:12 ; 4-byte Folded Reload
	v_mad_u64_u32 v[23:24], null, s9, v54, v[16:17]
	v_add_co_u32 v24, vcc_lo, v34, s5
	v_add_co_ci_u32_e32 v25, vcc_lo, s6, v35, vcc_lo
	v_fma_f64 v[28:29], v[59:60], v[8:9], v[48:49]
	v_mad_u64_u32 v[36:37], null, 0x4600, s8, v[24:25]
	v_fma_f64 v[32:33], v[59:60], v[10:11], -v[50:51]
	v_mul_f64 v[10:11], v[14:15], s[0:1]
	v_mul_f64 v[14:15], v[19:20], s[0:1]
	v_mov_b32_e32 v4, v37
	s_waitcnt vmcnt(0)
	v_mad_u64_u32 v[21:22], null, s8, v31, 0
	v_mov_b32_e32 v8, v22
	v_mad_u64_u32 v[26:27], null, s9, v31, v[8:9]
	v_mul_f64 v[8:9], v[12:13], s[0:1]
	v_mov_b32_e32 v31, v23
	v_mul_f64 v[12:13], v[17:18], s[0:1]
	v_mul_f64 v[16:17], v[28:29], s[0:1]
	;; [unrolled: 1-line block ×3, first 2 shown]
	v_mov_b32_e32 v22, v26
	v_lshlrev_b64 v[5:6], 4, v[30:31]
	v_lshlrev_b64 v[20:21], 4, v[21:22]
	v_mad_u64_u32 v[22:23], null, 0x4600, s9, v[4:5]
	v_add_co_u32 v4, vcc_lo, v70, v5
	v_add_co_ci_u32_e32 v5, vcc_lo, v71, v6, vcc_lo
	v_add_co_u32 v6, vcc_lo, v70, v20
	v_add_co_ci_u32_e32 v7, vcc_lo, v71, v21, vcc_lo
	v_mov_b32_e32 v37, v22
	global_store_dwordx4 v[24:25], v[0:3], off
	global_store_dwordx4 v[4:5], v[8:11], off
	global_store_dwordx4 v[6:7], v[12:15], off
	global_store_dwordx4 v[36:37], v[16:19], off
.LBB0_10:
	s_endpgm
	.section	.rodata,"a",@progbits
	.p2align	6, 0x0
	.amdhsa_kernel bluestein_single_fwd_len2016_dim1_dp_op_CI_CI
		.amdhsa_group_segment_fixed_size 64512
		.amdhsa_private_segment_fixed_size 660
		.amdhsa_kernarg_size 104
		.amdhsa_user_sgpr_count 6
		.amdhsa_user_sgpr_private_segment_buffer 1
		.amdhsa_user_sgpr_dispatch_ptr 0
		.amdhsa_user_sgpr_queue_ptr 0
		.amdhsa_user_sgpr_kernarg_segment_ptr 1
		.amdhsa_user_sgpr_dispatch_id 0
		.amdhsa_user_sgpr_flat_scratch_init 0
		.amdhsa_user_sgpr_private_segment_size 0
		.amdhsa_wavefront_size32 1
		.amdhsa_uses_dynamic_stack 0
		.amdhsa_system_sgpr_private_segment_wavefront_offset 1
		.amdhsa_system_sgpr_workgroup_id_x 1
		.amdhsa_system_sgpr_workgroup_id_y 0
		.amdhsa_system_sgpr_workgroup_id_z 0
		.amdhsa_system_sgpr_workgroup_info 0
		.amdhsa_system_vgpr_workitem_id 0
		.amdhsa_next_free_vgpr 256
		.amdhsa_next_free_sgpr 32
		.amdhsa_reserve_vcc 1
		.amdhsa_reserve_flat_scratch 0
		.amdhsa_float_round_mode_32 0
		.amdhsa_float_round_mode_16_64 0
		.amdhsa_float_denorm_mode_32 3
		.amdhsa_float_denorm_mode_16_64 3
		.amdhsa_dx10_clamp 1
		.amdhsa_ieee_mode 1
		.amdhsa_fp16_overflow 0
		.amdhsa_workgroup_processor_mode 1
		.amdhsa_memory_ordered 1
		.amdhsa_forward_progress 0
		.amdhsa_shared_vgpr_count 0
		.amdhsa_exception_fp_ieee_invalid_op 0
		.amdhsa_exception_fp_denorm_src 0
		.amdhsa_exception_fp_ieee_div_zero 0
		.amdhsa_exception_fp_ieee_overflow 0
		.amdhsa_exception_fp_ieee_underflow 0
		.amdhsa_exception_fp_ieee_inexact 0
		.amdhsa_exception_int_div_zero 0
	.end_amdhsa_kernel
	.text
.Lfunc_end0:
	.size	bluestein_single_fwd_len2016_dim1_dp_op_CI_CI, .Lfunc_end0-bluestein_single_fwd_len2016_dim1_dp_op_CI_CI
                                        ; -- End function
	.section	.AMDGPU.csdata,"",@progbits
; Kernel info:
; codeLenInByte = 30776
; NumSgprs: 34
; NumVgprs: 256
; ScratchSize: 660
; MemoryBound: 0
; FloatMode: 240
; IeeeMode: 1
; LDSByteSize: 64512 bytes/workgroup (compile time only)
; SGPRBlocks: 4
; VGPRBlocks: 31
; NumSGPRsForWavesPerEU: 34
; NumVGPRsForWavesPerEU: 256
; Occupancy: 4
; WaveLimiterHint : 1
; COMPUTE_PGM_RSRC2:SCRATCH_EN: 1
; COMPUTE_PGM_RSRC2:USER_SGPR: 6
; COMPUTE_PGM_RSRC2:TRAP_HANDLER: 0
; COMPUTE_PGM_RSRC2:TGID_X_EN: 1
; COMPUTE_PGM_RSRC2:TGID_Y_EN: 0
; COMPUTE_PGM_RSRC2:TGID_Z_EN: 0
; COMPUTE_PGM_RSRC2:TIDIG_COMP_CNT: 0
	.text
	.p2alignl 6, 3214868480
	.fill 48, 4, 3214868480
	.type	__hip_cuid_d36fe68af8dbe497,@object ; @__hip_cuid_d36fe68af8dbe497
	.section	.bss,"aw",@nobits
	.globl	__hip_cuid_d36fe68af8dbe497
__hip_cuid_d36fe68af8dbe497:
	.byte	0                               ; 0x0
	.size	__hip_cuid_d36fe68af8dbe497, 1

	.ident	"AMD clang version 19.0.0git (https://github.com/RadeonOpenCompute/llvm-project roc-6.4.0 25133 c7fe45cf4b819c5991fe208aaa96edf142730f1d)"
	.section	".note.GNU-stack","",@progbits
	.addrsig
	.addrsig_sym __hip_cuid_d36fe68af8dbe497
	.amdgpu_metadata
---
amdhsa.kernels:
  - .args:
      - .actual_access:  read_only
        .address_space:  global
        .offset:         0
        .size:           8
        .value_kind:     global_buffer
      - .actual_access:  read_only
        .address_space:  global
        .offset:         8
        .size:           8
        .value_kind:     global_buffer
      - .actual_access:  read_only
        .address_space:  global
        .offset:         16
        .size:           8
        .value_kind:     global_buffer
      - .actual_access:  read_only
        .address_space:  global
        .offset:         24
        .size:           8
        .value_kind:     global_buffer
      - .actual_access:  read_only
        .address_space:  global
        .offset:         32
        .size:           8
        .value_kind:     global_buffer
      - .offset:         40
        .size:           8
        .value_kind:     by_value
      - .address_space:  global
        .offset:         48
        .size:           8
        .value_kind:     global_buffer
      - .address_space:  global
        .offset:         56
        .size:           8
        .value_kind:     global_buffer
      - .address_space:  global
        .offset:         64
        .size:           8
        .value_kind:     global_buffer
      - .address_space:  global
        .offset:         72
        .size:           8
        .value_kind:     global_buffer
      - .offset:         80
        .size:           4
        .value_kind:     by_value
      - .address_space:  global
        .offset:         88
        .size:           8
        .value_kind:     global_buffer
      - .address_space:  global
        .offset:         96
        .size:           8
        .value_kind:     global_buffer
    .group_segment_fixed_size: 64512
    .kernarg_segment_align: 8
    .kernarg_segment_size: 104
    .language:       OpenCL C
    .language_version:
      - 2
      - 0
    .max_flat_workgroup_size: 224
    .name:           bluestein_single_fwd_len2016_dim1_dp_op_CI_CI
    .private_segment_fixed_size: 660
    .sgpr_count:     34
    .sgpr_spill_count: 0
    .symbol:         bluestein_single_fwd_len2016_dim1_dp_op_CI_CI.kd
    .uniform_work_group_size: 1
    .uses_dynamic_stack: false
    .vgpr_count:     256
    .vgpr_spill_count: 164
    .wavefront_size: 32
    .workgroup_processor_mode: 1
amdhsa.target:   amdgcn-amd-amdhsa--gfx1030
amdhsa.version:
  - 1
  - 2
...

	.end_amdgpu_metadata
